;; amdgpu-corpus repo=ROCm/rocFFT kind=compiled arch=gfx906 opt=O3
	.text
	.amdgcn_target "amdgcn-amd-amdhsa--gfx906"
	.amdhsa_code_object_version 6
	.protected	fft_rtc_fwd_len4000_factors_10_10_10_4_wgs_200_tpt_200_halfLds_dp_op_CI_CI_unitstride_sbrr_dirReg ; -- Begin function fft_rtc_fwd_len4000_factors_10_10_10_4_wgs_200_tpt_200_halfLds_dp_op_CI_CI_unitstride_sbrr_dirReg
	.globl	fft_rtc_fwd_len4000_factors_10_10_10_4_wgs_200_tpt_200_halfLds_dp_op_CI_CI_unitstride_sbrr_dirReg
	.p2align	8
	.type	fft_rtc_fwd_len4000_factors_10_10_10_4_wgs_200_tpt_200_halfLds_dp_op_CI_CI_unitstride_sbrr_dirReg,@function
fft_rtc_fwd_len4000_factors_10_10_10_4_wgs_200_tpt_200_halfLds_dp_op_CI_CI_unitstride_sbrr_dirReg: ; @fft_rtc_fwd_len4000_factors_10_10_10_4_wgs_200_tpt_200_halfLds_dp_op_CI_CI_unitstride_sbrr_dirReg
; %bb.0:
	s_load_dwordx4 s[8:11], s[4:5], 0x58
	s_load_dwordx4 s[12:15], s[4:5], 0x0
	;; [unrolled: 1-line block ×3, first 2 shown]
	v_mul_u32_u24_e32 v1, 0x148, v0
	v_add_u32_sdwa v6, s6, v1 dst_sel:DWORD dst_unused:UNUSED_PAD src0_sel:DWORD src1_sel:WORD_1
	v_mov_b32_e32 v1, 0
	s_waitcnt lgkmcnt(0)
	v_cmp_lt_u64_e64 s[0:1], s[14:15], 2
	v_mov_b32_e32 v4, 0
	v_mov_b32_e32 v7, v1
	s_and_b64 vcc, exec, s[0:1]
	v_mov_b32_e32 v5, 0
	s_cbranch_vccnz .LBB0_8
; %bb.1:
	s_load_dwordx2 s[0:1], s[4:5], 0x10
	s_add_u32 s2, s18, 8
	s_addc_u32 s3, s19, 0
	s_add_u32 s6, s16, 8
	v_mov_b32_e32 v4, 0
	s_addc_u32 s7, s17, 0
	v_mov_b32_e32 v5, 0
	s_waitcnt lgkmcnt(0)
	s_add_u32 s20, s0, 8
	v_mov_b32_e32 v81, v5
	s_addc_u32 s21, s1, 0
	s_mov_b64 s[22:23], 1
	v_mov_b32_e32 v80, v4
.LBB0_2:                                ; =>This Inner Loop Header: Depth=1
	s_load_dwordx2 s[24:25], s[20:21], 0x0
                                        ; implicit-def: $vgpr82_vgpr83
	s_waitcnt lgkmcnt(0)
	v_or_b32_e32 v2, s25, v7
	v_cmp_ne_u64_e32 vcc, 0, v[1:2]
	s_and_saveexec_b64 s[0:1], vcc
	s_xor_b64 s[26:27], exec, s[0:1]
	s_cbranch_execz .LBB0_4
; %bb.3:                                ;   in Loop: Header=BB0_2 Depth=1
	v_cvt_f32_u32_e32 v2, s24
	v_cvt_f32_u32_e32 v3, s25
	s_sub_u32 s0, 0, s24
	s_subb_u32 s1, 0, s25
	v_mac_f32_e32 v2, 0x4f800000, v3
	v_rcp_f32_e32 v2, v2
	v_mul_f32_e32 v2, 0x5f7ffffc, v2
	v_mul_f32_e32 v3, 0x2f800000, v2
	v_trunc_f32_e32 v3, v3
	v_mac_f32_e32 v2, 0xcf800000, v3
	v_cvt_u32_f32_e32 v3, v3
	v_cvt_u32_f32_e32 v2, v2
	v_mul_lo_u32 v8, s0, v3
	v_mul_hi_u32 v9, s0, v2
	v_mul_lo_u32 v11, s1, v2
	v_mul_lo_u32 v10, s0, v2
	v_add_u32_e32 v8, v9, v8
	v_add_u32_e32 v8, v8, v11
	v_mul_hi_u32 v9, v2, v10
	v_mul_lo_u32 v11, v2, v8
	v_mul_hi_u32 v13, v2, v8
	v_mul_hi_u32 v12, v3, v10
	v_mul_lo_u32 v10, v3, v10
	v_mul_hi_u32 v14, v3, v8
	v_add_co_u32_e32 v9, vcc, v9, v11
	v_addc_co_u32_e32 v11, vcc, 0, v13, vcc
	v_mul_lo_u32 v8, v3, v8
	v_add_co_u32_e32 v9, vcc, v9, v10
	v_addc_co_u32_e32 v9, vcc, v11, v12, vcc
	v_addc_co_u32_e32 v10, vcc, 0, v14, vcc
	v_add_co_u32_e32 v8, vcc, v9, v8
	v_addc_co_u32_e32 v9, vcc, 0, v10, vcc
	v_add_co_u32_e32 v2, vcc, v2, v8
	v_addc_co_u32_e32 v3, vcc, v3, v9, vcc
	v_mul_lo_u32 v8, s0, v3
	v_mul_hi_u32 v9, s0, v2
	v_mul_lo_u32 v10, s1, v2
	v_mul_lo_u32 v11, s0, v2
	v_add_u32_e32 v8, v9, v8
	v_add_u32_e32 v8, v8, v10
	v_mul_lo_u32 v12, v2, v8
	v_mul_hi_u32 v13, v2, v11
	v_mul_hi_u32 v14, v2, v8
	v_mul_hi_u32 v10, v3, v11
	v_mul_lo_u32 v11, v3, v11
	v_mul_hi_u32 v9, v3, v8
	v_add_co_u32_e32 v12, vcc, v13, v12
	v_addc_co_u32_e32 v13, vcc, 0, v14, vcc
	v_mul_lo_u32 v8, v3, v8
	v_add_co_u32_e32 v11, vcc, v12, v11
	v_addc_co_u32_e32 v10, vcc, v13, v10, vcc
	v_addc_co_u32_e32 v9, vcc, 0, v9, vcc
	v_add_co_u32_e32 v8, vcc, v10, v8
	v_addc_co_u32_e32 v9, vcc, 0, v9, vcc
	v_add_co_u32_e32 v8, vcc, v2, v8
	v_addc_co_u32_e32 v9, vcc, v3, v9, vcc
	v_mad_u64_u32 v[2:3], s[0:1], v6, v9, 0
	v_mul_hi_u32 v10, v6, v8
	v_add_co_u32_e32 v10, vcc, v10, v2
	v_addc_co_u32_e32 v11, vcc, 0, v3, vcc
	v_mad_u64_u32 v[2:3], s[0:1], v7, v8, 0
	v_mad_u64_u32 v[8:9], s[0:1], v7, v9, 0
	v_add_co_u32_e32 v2, vcc, v10, v2
	v_addc_co_u32_e32 v2, vcc, v11, v3, vcc
	v_addc_co_u32_e32 v3, vcc, 0, v9, vcc
	v_add_co_u32_e32 v8, vcc, v2, v8
	v_addc_co_u32_e32 v9, vcc, 0, v3, vcc
	v_mul_lo_u32 v10, s25, v8
	v_mul_lo_u32 v11, s24, v9
	v_mad_u64_u32 v[2:3], s[0:1], s24, v8, 0
	v_add3_u32 v3, v3, v11, v10
	v_sub_u32_e32 v10, v7, v3
	v_mov_b32_e32 v11, s25
	v_sub_co_u32_e32 v2, vcc, v6, v2
	v_subb_co_u32_e64 v10, s[0:1], v10, v11, vcc
	v_subrev_co_u32_e64 v11, s[0:1], s24, v2
	v_subbrev_co_u32_e64 v10, s[0:1], 0, v10, s[0:1]
	v_cmp_le_u32_e64 s[0:1], s25, v10
	v_cndmask_b32_e64 v12, 0, -1, s[0:1]
	v_cmp_le_u32_e64 s[0:1], s24, v11
	v_cndmask_b32_e64 v11, 0, -1, s[0:1]
	v_cmp_eq_u32_e64 s[0:1], s25, v10
	v_cndmask_b32_e64 v10, v12, v11, s[0:1]
	v_add_co_u32_e64 v11, s[0:1], 2, v8
	v_addc_co_u32_e64 v12, s[0:1], 0, v9, s[0:1]
	v_add_co_u32_e64 v13, s[0:1], 1, v8
	v_addc_co_u32_e64 v14, s[0:1], 0, v9, s[0:1]
	v_subb_co_u32_e32 v3, vcc, v7, v3, vcc
	v_cmp_ne_u32_e64 s[0:1], 0, v10
	v_cmp_le_u32_e32 vcc, s25, v3
	v_cndmask_b32_e64 v10, v14, v12, s[0:1]
	v_cndmask_b32_e64 v12, 0, -1, vcc
	v_cmp_le_u32_e32 vcc, s24, v2
	v_cndmask_b32_e64 v2, 0, -1, vcc
	v_cmp_eq_u32_e32 vcc, s25, v3
	v_cndmask_b32_e32 v2, v12, v2, vcc
	v_cmp_ne_u32_e32 vcc, 0, v2
	v_cndmask_b32_e64 v2, v13, v11, s[0:1]
	v_cndmask_b32_e32 v83, v9, v10, vcc
	v_cndmask_b32_e32 v82, v8, v2, vcc
.LBB0_4:                                ;   in Loop: Header=BB0_2 Depth=1
	s_andn2_saveexec_b64 s[0:1], s[26:27]
	s_cbranch_execz .LBB0_6
; %bb.5:                                ;   in Loop: Header=BB0_2 Depth=1
	v_cvt_f32_u32_e32 v2, s24
	s_sub_i32 s26, 0, s24
	v_mov_b32_e32 v83, v1
	v_rcp_iflag_f32_e32 v2, v2
	v_mul_f32_e32 v2, 0x4f7ffffe, v2
	v_cvt_u32_f32_e32 v2, v2
	v_mul_lo_u32 v3, s26, v2
	v_mul_hi_u32 v3, v2, v3
	v_add_u32_e32 v2, v2, v3
	v_mul_hi_u32 v2, v6, v2
	v_mul_lo_u32 v3, v2, s24
	v_add_u32_e32 v8, 1, v2
	v_sub_u32_e32 v3, v6, v3
	v_subrev_u32_e32 v9, s24, v3
	v_cmp_le_u32_e32 vcc, s24, v3
	v_cndmask_b32_e32 v3, v3, v9, vcc
	v_cndmask_b32_e32 v2, v2, v8, vcc
	v_add_u32_e32 v8, 1, v2
	v_cmp_le_u32_e32 vcc, s24, v3
	v_cndmask_b32_e32 v82, v2, v8, vcc
.LBB0_6:                                ;   in Loop: Header=BB0_2 Depth=1
	s_or_b64 exec, exec, s[0:1]
	v_mul_lo_u32 v8, v83, s24
	v_mul_lo_u32 v9, v82, s25
	v_mad_u64_u32 v[2:3], s[0:1], v82, s24, 0
	s_load_dwordx2 s[0:1], s[6:7], 0x0
	s_load_dwordx2 s[24:25], s[2:3], 0x0
	v_add3_u32 v3, v3, v9, v8
	v_sub_co_u32_e32 v2, vcc, v6, v2
	v_subb_co_u32_e32 v3, vcc, v7, v3, vcc
	s_waitcnt lgkmcnt(0)
	v_mul_lo_u32 v6, s0, v3
	v_mul_lo_u32 v7, s1, v2
	v_mad_u64_u32 v[4:5], s[0:1], s0, v2, v[4:5]
	v_mul_lo_u32 v3, s24, v3
	v_mul_lo_u32 v8, s25, v2
	v_mad_u64_u32 v[80:81], s[0:1], s24, v2, v[80:81]
	s_add_u32 s22, s22, 1
	s_addc_u32 s23, s23, 0
	s_add_u32 s2, s2, 8
	v_add3_u32 v81, v8, v81, v3
	s_addc_u32 s3, s3, 0
	v_mov_b32_e32 v2, s14
	s_add_u32 s6, s6, 8
	v_mov_b32_e32 v3, s15
	s_addc_u32 s7, s7, 0
	v_cmp_ge_u64_e32 vcc, s[22:23], v[2:3]
	s_add_u32 s20, s20, 8
	v_add3_u32 v5, v7, v5, v6
	s_addc_u32 s21, s21, 0
	s_cbranch_vccnz .LBB0_9
; %bb.7:                                ;   in Loop: Header=BB0_2 Depth=1
	v_mov_b32_e32 v6, v82
	v_mov_b32_e32 v7, v83
	s_branch .LBB0_2
.LBB0_8:
	v_mov_b32_e32 v81, v5
	v_mov_b32_e32 v83, v7
	;; [unrolled: 1-line block ×4, first 2 shown]
.LBB0_9:
	s_load_dwordx2 s[0:1], s[4:5], 0x28
	s_lshl_b64 s[6:7], s[14:15], 3
	s_add_u32 s2, s18, s6
	s_addc_u32 s3, s19, s7
                                        ; implicit-def: $vgpr84
	s_waitcnt lgkmcnt(0)
	v_cmp_gt_u64_e32 vcc, s[0:1], v[82:83]
	v_cmp_le_u64_e64 s[0:1], s[0:1], v[82:83]
	s_and_saveexec_b64 s[4:5], s[0:1]
	s_xor_b64 s[0:1], exec, s[4:5]
; %bb.10:
	s_mov_b32 s4, 0x147ae15
	v_mul_hi_u32 v1, v0, s4
                                        ; implicit-def: $vgpr4_vgpr5
	v_mul_u32_u24_e32 v1, 0xc8, v1
	v_sub_u32_e32 v84, v0, v1
                                        ; implicit-def: $vgpr0
; %bb.11:
	s_or_saveexec_b64 s[4:5], s[0:1]
                                        ; implicit-def: $vgpr46_vgpr47
                                        ; implicit-def: $vgpr62_vgpr63
                                        ; implicit-def: $vgpr42_vgpr43
                                        ; implicit-def: $vgpr66_vgpr67
                                        ; implicit-def: $vgpr50_vgpr51
                                        ; implicit-def: $vgpr22_vgpr23
                                        ; implicit-def: $vgpr2_vgpr3
                                        ; implicit-def: $vgpr26_vgpr27
                                        ; implicit-def: $vgpr6_vgpr7
                                        ; implicit-def: $vgpr38_vgpr39
                                        ; implicit-def: $vgpr14_vgpr15
                                        ; implicit-def: $vgpr34_vgpr35
                                        ; implicit-def: $vgpr10_vgpr11
                                        ; implicit-def: $vgpr30_vgpr31
                                        ; implicit-def: $vgpr18_vgpr19
                                        ; implicit-def: $vgpr78_vgpr79
                                        ; implicit-def: $vgpr54_vgpr55
                                        ; implicit-def: $vgpr70_vgpr71
                                        ; implicit-def: $vgpr58_vgpr59
                                        ; implicit-def: $vgpr74_vgpr75
	s_xor_b64 exec, exec, s[4:5]
	s_cbranch_execz .LBB0_13
; %bb.12:
	s_add_u32 s0, s16, s6
	s_addc_u32 s1, s17, s7
	s_load_dwordx2 s[0:1], s[0:1], 0x0
	s_mov_b32 s6, 0x147ae15
	v_mul_hi_u32 v3, v0, s6
	s_waitcnt lgkmcnt(0)
	v_mul_lo_u32 v6, s1, v82
	v_mul_lo_u32 v7, s0, v83
	v_mad_u64_u32 v[1:2], s[0:1], s0, v82, 0
	v_mul_u32_u24_e32 v3, 0xc8, v3
	v_sub_u32_e32 v84, v0, v3
	v_add3_u32 v2, v2, v7, v6
	v_lshlrev_b64 v[0:1], 4, v[1:2]
	v_mov_b32_e32 v2, s9
	v_add_co_u32_e64 v3, s[0:1], s8, v0
	v_addc_co_u32_e64 v2, s[0:1], v2, v1, s[0:1]
	v_lshlrev_b64 v[0:1], 4, v[4:5]
	v_add_co_u32_e64 v0, s[0:1], v3, v0
	v_addc_co_u32_e64 v1, s[0:1], v2, v1, s[0:1]
	v_lshlrev_b32_e32 v2, 4, v84
	v_add_co_u32_e64 v12, s[0:1], v0, v2
	v_addc_co_u32_e64 v13, s[0:1], 0, v1, s[0:1]
	s_movk_i32 s0, 0x1000
	v_add_co_u32_e64 v14, s[0:1], s0, v12
	v_addc_co_u32_e64 v15, s[0:1], 0, v13, s[0:1]
	s_movk_i32 s0, 0x3000
	;; [unrolled: 3-line block ×5, first 2 shown]
	v_add_co_u32_e64 v38, s[0:1], s0, v12
	v_addc_co_u32_e64 v39, s[0:1], 0, v13, s[0:1]
	s_mov_b32 s0, 0x9000
	v_add_co_u32_e64 v48, s[0:1], s0, v12
	v_addc_co_u32_e64 v49, s[0:1], 0, v13, s[0:1]
	s_mov_b32 s0, 0xa000
	;; [unrolled: 3-line block ×4, first 2 shown]
	v_add_co_u32_e64 v87, s[0:1], s0, v12
	v_addc_co_u32_e64 v88, s[0:1], 0, v13, s[0:1]
	s_movk_i32 s0, 0x2000
	v_add_co_u32_e64 v89, s[0:1], s0, v12
	v_addc_co_u32_e64 v90, s[0:1], 0, v13, s[0:1]
	s_movk_i32 s0, 0x5000
	v_add_co_u32_e64 v76, s[0:1], s0, v12
	v_addc_co_u32_e64 v77, s[0:1], 0, v13, s[0:1]
	s_mov_b32 s0, 0x8000
	v_add_co_u32_e64 v78, s[0:1], s0, v12
	v_addc_co_u32_e64 v79, s[0:1], 0, v13, s[0:1]
	s_mov_b32 s0, 0xb000
	;; [unrolled: 3-line block ×3, first 2 shown]
	v_add_co_u32_e64 v93, s[0:1], s0, v12
	v_addc_co_u32_e64 v94, s[0:1], 0, v13, s[0:1]
	global_load_dwordx4 v[72:75], v[12:13], off
	global_load_dwordx4 v[20:23], v[12:13], off offset:3200
	global_load_dwordx4 v[44:47], v[14:15], off offset:2304
	;; [unrolled: 1-line block ×14, first 2 shown]
                                        ; kill: killed $vgpr48 killed $vgpr49
                                        ; kill: killed $vgpr38 killed $vgpr39
                                        ; kill: killed $vgpr91 killed $vgpr92
                                        ; kill: killed $vgpr36 killed $vgpr37
                                        ; kill: killed $vgpr78 killed $vgpr79
                                        ; kill: killed $vgpr18 killed $vgpr19
                                        ; kill: killed $vgpr12 killed $vgpr13
                                        ; kill: killed $vgpr16 killed $vgpr17
                                        ; kill: killed $vgpr76 killed $vgpr77
                                        ; kill: killed $vgpr14 killed $vgpr15
                                        ; kill: killed $vgpr50 killed $vgpr51
	global_load_dwordx4 v[36:39], v[93:94], off offset:1152
	s_nop 0
	global_load_dwordx4 v[76:79], v[85:86], off offset:2048
	global_load_dwordx4 v[48:51], v[87:88], off offset:256
	;; [unrolled: 1-line block ×4, first 2 shown]
.LBB0_13:
	s_or_b64 exec, exec, s[4:5]
	s_waitcnt vmcnt(11)
	v_add_f64 v[85:86], v[64:65], v[68:69]
	v_add_f64 v[87:88], v[60:61], v[72:73]
	s_waitcnt vmcnt(3)
	v_add_f64 v[89:90], v[62:63], -v[78:79]
	v_add_f64 v[97:98], v[60:61], v[76:77]
	s_mov_b32 s4, 0x134454ff
	s_mov_b32 s5, 0x3fee6f0e
	v_add_f64 v[91:92], v[70:71], -v[66:67]
	v_add_f64 v[93:94], v[60:61], -v[68:69]
	v_fma_f64 v[85:86], v[85:86], -0.5, v[72:73]
	v_add_f64 v[95:96], v[76:77], -v[64:65]
	v_add_f64 v[87:88], v[68:69], v[87:88]
	v_fma_f64 v[72:73], v[97:98], -0.5, v[72:73]
	s_mov_b32 s6, 0x4755a5e
	s_mov_b32 s7, 0x3fe2cf23
	;; [unrolled: 1-line block ×4, first 2 shown]
	v_fma_f64 v[99:100], v[89:90], s[4:5], v[85:86]
	v_add_f64 v[93:94], v[95:96], v[93:94]
	v_add_f64 v[87:88], v[64:65], v[87:88]
	v_fma_f64 v[85:86], v[89:90], s[14:15], v[85:86]
	v_fma_f64 v[105:106], v[91:92], s[14:15], v[72:73]
	;; [unrolled: 1-line block ×3, first 2 shown]
	s_mov_b32 s17, 0xbfe2cf23
	s_mov_b32 s16, s6
	v_fma_f64 v[95:96], v[91:92], s[6:7], v[99:100]
	v_add_f64 v[99:100], v[62:63], v[74:75]
	v_add_f64 v[101:102], v[68:69], -v[60:61]
	v_add_f64 v[103:104], v[64:65], -v[76:77]
	v_add_f64 v[97:98], v[66:67], v[70:71]
	v_add_f64 v[87:88], v[76:77], v[87:88]
	v_add_f64 v[60:61], v[60:61], -v[76:77]
	v_fma_f64 v[76:77], v[91:92], s[16:17], v[85:86]
	v_fma_f64 v[85:86], v[89:90], s[6:7], v[105:106]
	;; [unrolled: 1-line block ×3, first 2 shown]
	v_add_f64 v[89:90], v[70:71], v[99:100]
	s_mov_b32 s8, 0x372fe950
	s_mov_b32 s9, 0x3fd3c6ef
	v_fma_f64 v[95:96], v[93:94], s[8:9], v[95:96]
	v_fma_f64 v[97:98], v[97:98], -0.5, v[74:75]
	v_add_f64 v[91:92], v[103:104], v[101:102]
	v_add_f64 v[101:102], v[62:63], v[78:79]
	v_add_f64 v[64:65], v[68:69], -v[64:65]
	v_add_f64 v[68:69], v[62:63], -v[70:71]
	;; [unrolled: 1-line block ×3, first 2 shown]
	v_fma_f64 v[76:77], v[93:94], s[8:9], v[76:77]
	v_add_f64 v[89:90], v[66:67], v[89:90]
	v_add_f64 v[93:94], v[40:41], v[52:53]
	v_add_f64 v[62:63], v[70:71], -v[62:63]
	v_add_f64 v[66:67], v[66:67], -v[78:79]
	v_fma_f64 v[99:100], v[60:61], s[14:15], v[97:98]
	v_fma_f64 v[74:75], v[101:102], -0.5, v[74:75]
	v_fma_f64 v[97:98], v[60:61], s[4:5], v[97:98]
	v_add_f64 v[70:71], v[44:45], v[56:57]
	v_add_f64 v[78:79], v[78:79], v[89:90]
	v_fma_f64 v[89:90], v[93:94], -0.5, v[44:45]
	s_waitcnt vmcnt(2)
	v_add_f64 v[93:94], v[58:59], -v[50:51]
	v_add_f64 v[62:63], v[66:67], v[62:63]
	v_add_f64 v[66:67], v[48:49], v[56:57]
	v_fma_f64 v[85:86], v[91:92], s[8:9], v[85:86]
	v_fma_f64 v[72:73], v[91:92], s[8:9], v[72:73]
	;; [unrolled: 1-line block ×3, first 2 shown]
	v_add_f64 v[68:69], v[103:104], v[68:69]
	v_fma_f64 v[99:100], v[64:65], s[4:5], v[74:75]
	v_fma_f64 v[97:98], v[64:65], s[6:7], v[97:98]
	;; [unrolled: 1-line block ×3, first 2 shown]
	v_add_f64 v[70:71], v[40:41], v[70:71]
	v_fma_f64 v[74:75], v[93:94], s[4:5], v[89:90]
	v_add_f64 v[101:102], v[42:43], -v[54:55]
	v_add_f64 v[103:104], v[56:57], -v[40:41]
	;; [unrolled: 1-line block ×3, first 2 shown]
	v_fma_f64 v[44:45], v[66:67], -0.5, v[44:45]
	v_add_f64 v[66:67], v[42:43], v[54:55]
	v_fma_f64 v[91:92], v[68:69], s[8:9], v[91:92]
	v_fma_f64 v[99:100], v[60:61], s[16:17], v[99:100]
	;; [unrolled: 1-line block ×4, first 2 shown]
	v_add_f64 v[64:65], v[52:53], v[70:71]
	v_fma_f64 v[68:69], v[101:102], s[6:7], v[74:75]
	v_add_f64 v[70:71], v[105:106], v[103:104]
	v_fma_f64 v[74:75], v[93:94], s[14:15], v[89:90]
	v_fma_f64 v[89:90], v[101:102], s[14:15], v[44:45]
	v_fma_f64 v[66:67], v[66:67], -0.5, v[46:47]
	v_add_f64 v[103:104], v[56:57], -v[48:49]
	v_fma_f64 v[99:100], v[62:63], s[8:9], v[99:100]
	v_fma_f64 v[105:106], v[62:63], s[8:9], v[60:61]
	v_add_f64 v[62:63], v[48:49], v[64:65]
	v_add_f64 v[60:61], v[50:51], v[58:59]
	v_fma_f64 v[64:65], v[70:71], s[8:9], v[68:69]
	v_fma_f64 v[68:69], v[101:102], s[16:17], v[74:75]
	;; [unrolled: 1-line block ×3, first 2 shown]
	v_add_f64 v[89:90], v[46:47], v[58:59]
	v_fma_f64 v[107:108], v[103:104], s[14:15], v[66:67]
	v_add_f64 v[109:110], v[40:41], -v[52:53]
	v_add_f64 v[40:41], v[40:41], -v[56:57]
	;; [unrolled: 1-line block ×5, first 2 shown]
	v_fma_f64 v[46:47], v[60:61], -0.5, v[46:47]
	v_add_f64 v[60:61], v[42:43], v[89:90]
	v_add_f64 v[42:43], v[42:43], -v[58:59]
	v_fma_f64 v[89:90], v[109:110], s[16:17], v[107:108]
	v_add_f64 v[58:59], v[54:55], -v[50:51]
	v_fma_f64 v[44:45], v[101:102], s[4:5], v[44:45]
	v_fma_f64 v[66:67], v[103:104], s[4:5], v[66:67]
	v_add_f64 v[52:53], v[56:57], v[52:53]
	v_fma_f64 v[101:102], v[109:110], s[4:5], v[46:47]
	v_add_f64 v[40:41], v[48:49], v[40:41]
	v_add_f64 v[48:49], v[54:55], v[60:61]
	v_fma_f64 v[46:47], v[109:110], s[14:15], v[46:47]
	v_add_f64 v[42:43], v[58:59], v[42:43]
	v_fma_f64 v[44:45], v[93:94], s[16:17], v[44:45]
	v_fma_f64 v[54:55], v[109:110], s[6:7], v[66:67]
	;; [unrolled: 1-line block ×6, first 2 shown]
	v_add_f64 v[74:75], v[50:51], v[48:49]
	s_mov_b32 s18, 0x9b97f4a8
	s_mov_b32 s19, 0x3fe9e377
	v_fma_f64 v[46:47], v[103:104], s[6:7], v[46:47]
	v_mul_f64 v[50:51], v[58:59], s[6:7]
	v_fma_f64 v[68:69], v[40:41], s[8:9], v[44:45]
	v_fma_f64 v[44:45], v[52:53], s[8:9], v[54:55]
	v_fma_f64 v[48:49], v[42:43], s[8:9], v[56:57]
	v_mul_f64 v[52:53], v[60:61], s[8:9]
	v_mul_f64 v[54:55], v[66:67], s[18:19]
	v_add_f64 v[40:41], v[62:63], v[87:88]
	v_fma_f64 v[42:43], v[42:43], s[8:9], v[46:47]
	v_fma_f64 v[70:71], v[64:65], s[18:19], v[50:51]
	v_mul_f64 v[50:51], v[64:65], s[16:17]
	v_mul_f64 v[46:47], v[68:69], s[8:9]
	v_add_f64 v[64:65], v[24:25], v[32:33]
	v_fma_f64 v[89:90], v[48:49], s[4:5], v[52:53]
	v_mul_f64 v[52:53], v[60:61], s[14:15]
	v_fma_f64 v[101:102], v[44:45], s[6:7], -v[54:55]
	v_mul_f64 v[56:57], v[42:43], s[8:9]
	v_mul_f64 v[60:61], v[44:45], s[18:19]
	v_fma_f64 v[103:104], v[58:59], s[18:19], v[50:51]
	v_add_f64 v[50:51], v[87:88], -v[62:63]
	v_add_f64 v[87:88], v[20:21], v[28:29]
	v_fma_f64 v[93:94], v[42:43], s[4:5], -v[46:47]
	v_add_f64 v[42:43], v[95:96], v[70:71]
	v_fma_f64 v[107:108], v[48:49], s[8:9], v[52:53]
	v_add_f64 v[48:49], v[76:77], v[101:102]
	v_fma_f64 v[113:114], v[64:65], -0.5, v[20:21]
	v_add_f64 v[64:65], v[95:96], -v[70:71]
	v_add_f64 v[70:71], v[76:77], -v[101:102]
	v_add_f64 v[76:77], v[24:25], v[87:88]
	v_add_f64 v[44:45], v[85:86], v[89:90]
	v_fma_f64 v[109:110], v[68:69], s[14:15], -v[56:57]
	v_fma_f64 v[111:112], v[66:67], s[16:17], -v[60:61]
	v_add_f64 v[46:47], v[72:73], v[93:94]
	v_add_f64 v[52:53], v[74:75], v[78:79]
	;; [unrolled: 1-line block ×3, first 2 shown]
	v_add_f64 v[115:116], v[30:31], -v[38:39]
	v_add_f64 v[66:67], v[85:86], -v[89:90]
	;; [unrolled: 1-line block ×4, first 2 shown]
	v_add_f64 v[78:79], v[36:37], v[28:29]
	v_add_f64 v[89:90], v[28:29], -v[24:25]
	v_add_f64 v[93:94], v[36:37], -v[32:33]
	;; [unrolled: 1-line block ×3, first 2 shown]
	v_add_f64 v[91:92], v[32:33], v[76:77]
	v_add_f64 v[56:57], v[99:100], v[107:108]
	v_fma_f64 v[85:86], v[115:116], s[4:5], v[113:114]
	v_add_f64 v[87:88], v[26:27], -v[34:35]
	v_add_f64 v[74:75], v[99:100], -v[107:108]
	v_fma_f64 v[20:21], v[78:79], -0.5, v[20:21]
	v_add_f64 v[89:90], v[93:94], v[89:90]
	v_fma_f64 v[93:94], v[115:116], s[14:15], v[113:114]
	v_add_f64 v[91:92], v[36:37], v[91:92]
	v_add_f64 v[99:100], v[22:23], v[30:31]
	v_add_f64 v[101:102], v[28:29], -v[36:37]
	v_add_f64 v[28:29], v[24:25], -v[28:29]
	;; [unrolled: 1-line block ×3, first 2 shown]
	v_add_f64 v[60:61], v[97:98], v[111:112]
	v_add_f64 v[95:96], v[26:27], v[34:35]
	v_fma_f64 v[85:86], v[87:88], s[6:7], v[85:86]
	v_add_f64 v[78:79], v[97:98], -v[111:112]
	v_fma_f64 v[97:98], v[87:88], s[14:15], v[20:21]
	v_fma_f64 v[93:94], v[87:88], s[16:17], v[93:94]
	;; [unrolled: 1-line block ×3, first 2 shown]
	v_add_f64 v[87:88], v[26:27], v[99:100]
	v_add_f64 v[28:29], v[36:37], v[28:29]
	;; [unrolled: 1-line block ×3, first 2 shown]
	v_fma_f64 v[95:96], v[95:96], -0.5, v[22:23]
	v_fma_f64 v[85:86], v[89:90], s[8:9], v[85:86]
	v_add_f64 v[24:25], v[24:25], -v[32:33]
	v_add_f64 v[32:33], v[30:31], -v[26:27]
	;; [unrolled: 1-line block ×3, first 2 shown]
	v_add_f64 v[87:88], v[34:35], v[87:88]
	v_fma_f64 v[89:90], v[89:90], s[8:9], v[93:94]
	v_add_f64 v[93:94], v[4:5], v[8:9]
	v_fma_f64 v[22:23], v[36:37], -0.5, v[22:23]
	v_fma_f64 v[97:98], v[115:116], s[6:7], v[97:98]
	v_fma_f64 v[99:100], v[101:102], s[14:15], v[95:96]
	;; [unrolled: 1-line block ×3, first 2 shown]
	v_add_f64 v[32:33], v[103:104], v[32:33]
	v_add_f64 v[36:37], v[38:39], v[87:88]
	v_fma_f64 v[95:96], v[101:102], s[4:5], v[95:96]
	s_waitcnt vmcnt(1)
	v_fma_f64 v[87:88], v[93:94], -0.5, v[16:17]
	s_waitcnt vmcnt(0)
	v_add_f64 v[93:94], v[2:3], -v[14:15]
	v_fma_f64 v[103:104], v[24:25], s[4:5], v[22:23]
	v_add_f64 v[26:27], v[26:27], -v[30:31]
	v_add_f64 v[30:31], v[34:35], -v[38:39]
	v_fma_f64 v[22:23], v[24:25], s[14:15], v[22:23]
	v_add_f64 v[58:59], v[105:106], v[109:110]
	v_add_f64 v[76:77], v[105:106], -v[109:110]
	v_fma_f64 v[99:100], v[24:25], s[16:17], v[99:100]
	v_fma_f64 v[97:98], v[28:29], s[8:9], v[97:98]
	;; [unrolled: 1-line block ×3, first 2 shown]
	v_add_f64 v[20:21], v[0:1], v[16:17]
	v_fma_f64 v[34:35], v[93:94], s[4:5], v[87:88]
	v_add_f64 v[38:39], v[10:11], -v[6:7]
	v_add_f64 v[105:106], v[0:1], -v[8:9]
	;; [unrolled: 1-line block ×3, first 2 shown]
	v_fma_f64 v[24:25], v[24:25], s[6:7], v[95:96]
	v_add_f64 v[95:96], v[0:1], v[12:13]
	v_fma_f64 v[103:104], v[101:102], s[16:17], v[103:104]
	v_add_f64 v[26:27], v[30:31], v[26:27]
	v_fma_f64 v[22:23], v[101:102], s[6:7], v[22:23]
	v_fma_f64 v[87:88], v[93:94], s[14:15], v[87:88]
	v_add_f64 v[20:21], v[8:9], v[20:21]
	v_fma_f64 v[30:31], v[38:39], s[6:7], v[34:35]
	v_add_f64 v[34:35], v[107:108], v[105:106]
	v_fma_f64 v[16:17], v[95:96], -0.5, v[16:17]
	v_fma_f64 v[99:100], v[32:33], s[8:9], v[99:100]
	v_fma_f64 v[101:102], v[26:27], s[8:9], v[103:104]
	;; [unrolled: 1-line block ×3, first 2 shown]
	v_add_f64 v[22:23], v[6:7], v[10:11]
	v_fma_f64 v[26:27], v[38:39], s[16:17], v[87:88]
	v_add_f64 v[87:88], v[2:3], v[14:15]
	v_add_f64 v[20:21], v[4:5], v[20:21]
	v_fma_f64 v[95:96], v[32:33], s[8:9], v[24:25]
	v_fma_f64 v[24:25], v[34:35], s[8:9], v[30:31]
	;; [unrolled: 1-line block ×3, first 2 shown]
	v_add_f64 v[32:33], v[8:9], -v[0:1]
	v_add_f64 v[105:106], v[4:5], -v[12:13]
	v_add_f64 v[107:108], v[2:3], v[18:19]
	v_fma_f64 v[22:23], v[22:23], -0.5, v[18:19]
	v_add_f64 v[0:1], v[0:1], -v[12:13]
	v_add_f64 v[4:5], v[8:9], -v[4:5]
	v_fma_f64 v[8:9], v[87:88], -0.5, v[18:19]
	v_fma_f64 v[16:17], v[38:39], s[4:5], v[16:17]
	v_add_f64 v[20:21], v[12:13], v[20:21]
	v_fma_f64 v[12:13], v[34:35], s[8:9], v[26:27]
	v_fma_f64 v[26:27], v[93:94], s[6:7], v[30:31]
	v_add_f64 v[18:19], v[105:106], v[32:33]
	v_add_f64 v[30:31], v[10:11], v[107:108]
	v_fma_f64 v[32:33], v[0:1], s[14:15], v[22:23]
	v_add_f64 v[34:35], v[2:3], -v[10:11]
	v_add_f64 v[38:39], v[14:15], -v[6:7]
	v_fma_f64 v[22:23], v[0:1], s[4:5], v[22:23]
	v_fma_f64 v[87:88], v[4:5], s[4:5], v[8:9]
	v_add_f64 v[2:3], v[10:11], -v[2:3]
	v_add_f64 v[10:11], v[6:7], -v[14:15]
	v_fma_f64 v[8:9], v[4:5], s[14:15], v[8:9]
	v_fma_f64 v[16:17], v[93:94], s[16:17], v[16:17]
	v_add_f64 v[6:7], v[6:7], v[30:31]
	v_fma_f64 v[30:31], v[4:5], s[16:17], v[32:33]
	v_add_f64 v[32:33], v[38:39], v[34:35]
	v_fma_f64 v[4:5], v[4:5], s[6:7], v[22:23]
	v_fma_f64 v[22:23], v[0:1], s[16:17], v[87:88]
	v_add_f64 v[2:3], v[10:11], v[2:3]
	v_fma_f64 v[0:1], v[0:1], s[6:7], v[8:9]
	v_fma_f64 v[8:9], v[18:19], s[8:9], v[26:27]
	;; [unrolled: 1-line block ×3, first 2 shown]
	v_add_f64 v[34:35], v[14:15], v[6:7]
	v_fma_f64 v[6:7], v[32:33], s[8:9], v[30:31]
	v_fma_f64 v[4:5], v[32:33], s[8:9], v[4:5]
	v_mul_f64 v[14:15], v[24:25], s[18:19]
	v_fma_f64 v[16:17], v[2:3], s[8:9], v[22:23]
	v_fma_f64 v[2:3], v[2:3], s[8:9], v[0:1]
	v_mul_f64 v[18:19], v[8:9], s[8:9]
	v_mul_f64 v[22:23], v[10:11], s[8:9]
	;; [unrolled: 1-line block ×5, first 2 shown]
	v_fma_f64 v[30:31], v[6:7], s[6:7], v[14:15]
	v_mul_f64 v[14:15], v[24:25], s[16:17]
	v_mul_f64 v[24:25], v[2:3], s[8:9]
	v_fma_f64 v[38:39], v[16:17], s[4:5], v[18:19]
	v_fma_f64 v[87:88], v[2:3], s[4:5], -v[22:23]
	v_fma_f64 v[93:94], v[4:5], s[6:7], -v[26:27]
	v_fma_f64 v[107:108], v[16:17], s[8:9], v[8:9]
	v_fma_f64 v[12:13], v[12:13], s[16:17], -v[32:33]
	v_add_f64 v[0:1], v[91:92], v[20:21]
	v_fma_f64 v[105:106], v[6:7], s[18:19], v[14:15]
	v_fma_f64 v[109:110], v[10:11], s[14:15], -v[24:25]
	v_add_f64 v[2:3], v[85:86], v[30:31]
	v_add_f64 v[4:5], v[97:98], v[38:39]
	;; [unrolled: 1-line block ×4, first 2 shown]
	v_add_f64 v[10:11], v[91:92], -v[20:21]
	v_add_f64 v[18:19], v[85:86], -v[30:31]
	v_add_f64 v[20:21], v[97:98], -v[38:39]
	v_add_f64 v[30:31], v[28:29], -v[87:88]
	v_add_f64 v[32:33], v[89:90], -v[93:94]
	v_add_f64 v[26:27], v[95:96], v[12:13]
	v_add_f64 v[87:88], v[95:96], -v[12:13]
	v_mul_u32_u24_e32 v12, 10, v84
	v_add_f64 v[14:15], v[36:37], v[34:35]
	v_add_f64 v[16:17], v[99:100], v[105:106]
	;; [unrolled: 1-line block ×3, first 2 shown]
	v_add_f64 v[28:29], v[36:37], -v[34:35]
	v_add_f64 v[36:37], v[101:102], -v[107:108]
	v_lshl_add_u32 v101, v12, 3, 0
	s_movk_i32 s0, 0xffb8
	s_load_dwordx2 s[2:3], s[2:3], 0x0
	v_add_f64 v[24:25], v[103:104], v[109:110]
	ds_write_b128 v101, v[40:43]
	ds_write_b128 v101, v[44:47] offset:16
	ds_write_b128 v101, v[48:51] offset:32
	ds_write_b128 v101, v[64:67] offset:48
	ds_write_b128 v101, v[68:71] offset:64
	v_mad_i32_i24 v44, v84, s0, v101
	ds_write_b128 v101, v[0:3] offset:16000
	ds_write_b128 v101, v[4:7] offset:16016
	;; [unrolled: 1-line block ×5, first 2 shown]
	v_add_u32_e32 v12, 0xc00, v44
	v_add_u32_e32 v46, 0x1800, v44
	;; [unrolled: 1-line block ×9, first 2 shown]
	s_movk_i32 s0, 0xcd
	v_add_f64 v[34:35], v[99:100], -v[105:106]
	v_add_f64 v[85:86], v[103:104], -v[109:110]
	s_waitcnt lgkmcnt(0)
	s_barrier
	ds_read2_b64 v[0:3], v44 offset1:200
	ds_read2_b64 v[4:7], v12 offset0:16 offset1:216
	ds_read2_b64 v[8:11], v46 offset0:32 offset1:232
	ds_read2_b64 v[30:33], v21 offset0:48 offset1:248
	ds_read2_b64 v[38:41], v47 offset1:200
	ds_read2_b64 v[64:67], v45 offset0:16 offset1:216
	ds_read2_b64 v[68:71], v48 offset0:32 offset1:232
	;; [unrolled: 1-line block ×3, first 2 shown]
	ds_read2_b64 v[93:96], v20 offset1:200
	ds_read2_b64 v[97:100], v50 offset0:16 offset1:216
	s_waitcnt lgkmcnt(0)
	s_barrier
	ds_write_b128 v101, v[52:55]
	ds_write_b128 v101, v[56:59] offset:16
	ds_write_b128 v101, v[60:63] offset:32
	;; [unrolled: 1-line block ×9, first 2 shown]
	v_mul_lo_u16_sdwa v14, v84, s0 dst_sel:DWORD dst_unused:UNUSED_PAD src0_sel:BYTE_0 src1_sel:DWORD
	v_lshrrev_b16_e32 v14, 11, v14
	v_mul_lo_u16_e32 v15, 10, v14
	v_sub_u16_e32 v15, v84, v15
	v_mov_b32_e32 v16, 9
	v_mul_u32_u24_sdwa v16, v15, v16 dst_sel:DWORD dst_unused:UNUSED_PAD src0_sel:BYTE_0 src1_sel:DWORD
	v_lshlrev_b32_e32 v63, 4, v16
	s_waitcnt lgkmcnt(0)
	s_barrier
	global_load_dwordx4 v[22:25], v63, s[12:13]
	v_add_u32_e32 v13, 0xc8, v84
	s_mov_b32 s0, 0xcccd
	v_mul_u32_u24_sdwa v16, v13, s0 dst_sel:DWORD dst_unused:UNUSED_PAD src0_sel:WORD_0 src1_sel:DWORD
	v_lshrrev_b32_e32 v16, 19, v16
	v_mul_lo_u16_e32 v17, 10, v16
	v_sub_u16_e32 v17, v13, v17
	v_mul_u32_u24_e32 v18, 9, v17
	v_lshlrev_b32_e32 v129, 4, v18
	global_load_dwordx4 v[26:29], v129, s[12:13]
	global_load_dwordx4 v[34:37], v63, s[12:13] offset:16
	global_load_dwordx4 v[51:54], v129, s[12:13] offset:16
	;; [unrolled: 1-line block ×7, first 2 shown]
	ds_read2_b64 v[101:104], v12 offset0:16 offset1:216
	global_load_dwordx4 v[105:108], v129, s[12:13] offset:64
	global_load_dwordx4 v[113:116], v63, s[12:13] offset:80
	ds_read2_b64 v[117:120], v46 offset0:32 offset1:232
	global_load_dwordx4 v[109:112], v63, s[12:13] offset:128
	s_movk_i32 s0, 0x64
	v_cmp_gt_u32_e64 s[0:1], s0, v84
	s_movk_i32 s20, 0x7000
	s_waitcnt vmcnt(11) lgkmcnt(1)
	v_mul_f64 v[18:19], v[101:102], v[24:25]
	v_mul_f64 v[24:25], v[4:5], v[24:25]
	s_waitcnt vmcnt(10)
	v_mul_f64 v[42:43], v[103:104], v[28:29]
	v_mul_f64 v[28:29], v[6:7], v[28:29]
	v_fma_f64 v[18:19], v[4:5], v[22:23], -v[18:19]
	v_fma_f64 v[121:122], v[101:102], v[22:23], v[24:25]
	global_load_dwordx4 v[22:25], v129, s[12:13] offset:80
	s_waitcnt vmcnt(10) lgkmcnt(0)
	v_mul_f64 v[101:102], v[117:118], v[36:37]
	v_mul_f64 v[36:37], v[8:9], v[36:37]
	v_fma_f64 v[6:7], v[6:7], v[26:27], -v[42:43]
	v_fma_f64 v[4:5], v[103:104], v[26:27], v[28:29]
	ds_read2_b64 v[26:29], v21 offset0:48 offset1:248
	s_waitcnt vmcnt(9)
	v_mul_f64 v[42:43], v[119:120], v[53:54]
	v_mul_f64 v[53:54], v[10:11], v[53:54]
	v_fma_f64 v[123:124], v[8:9], v[34:35], -v[101:102]
	global_load_dwordx4 v[101:104], v63, s[12:13] offset:112
	v_fma_f64 v[117:118], v[117:118], v[34:35], v[36:37]
	global_load_dwordx4 v[34:37], v63, s[12:13] offset:96
	s_waitcnt vmcnt(10) lgkmcnt(0)
	v_mul_f64 v[8:9], v[26:27], v[57:58]
	v_fma_f64 v[42:43], v[10:11], v[51:52], -v[42:43]
	v_fma_f64 v[119:120], v[119:120], v[51:52], v[53:54]
	v_mul_f64 v[10:11], v[30:31], v[57:58]
	global_load_dwordx4 v[51:54], v129, s[12:13] offset:96
	s_waitcnt vmcnt(10)
	v_mul_f64 v[57:58], v[28:29], v[61:62]
	v_fma_f64 v[125:126], v[30:31], v[55:56], -v[8:9]
	v_mul_f64 v[8:9], v[32:33], v[61:62]
	s_waitcnt vmcnt(5)
	v_mul_f64 v[61:62], v[68:69], v[115:116]
	v_fma_f64 v[127:128], v[26:27], v[55:56], v[10:11]
	v_fma_f64 v[10:11], v[32:33], v[59:60], -v[57:58]
	ds_read2_b64 v[30:33], v47 offset1:200
	v_fma_f64 v[8:9], v[28:29], v[59:60], v[8:9]
	global_load_dwordx4 v[26:29], v129, s[12:13] offset:112
	s_waitcnt lgkmcnt(0)
	v_mul_f64 v[55:56], v[30:31], v[74:75]
	v_mul_f64 v[59:60], v[38:39], v[74:75]
	v_fma_f64 v[74:75], v[38:39], v[72:73], -v[55:56]
	global_load_dwordx4 v[55:58], v129, s[12:13] offset:128
	v_fma_f64 v[72:73], v[30:31], v[72:73], v[59:60]
	v_mul_f64 v[30:31], v[32:33], v[78:79]
	v_mul_f64 v[59:60], v[40:41], v[78:79]
	v_fma_f64 v[78:79], v[40:41], v[76:77], -v[30:31]
	ds_read2_b64 v[38:41], v45 offset0:16 offset1:216
	v_fma_f64 v[76:77], v[32:33], v[76:77], v[59:60]
	v_mul_f64 v[32:33], v[64:65], v[87:88]
	s_waitcnt lgkmcnt(0)
	v_mul_f64 v[30:31], v[38:39], v[87:88]
	v_mul_f64 v[59:60], v[40:41], v[107:108]
	v_fma_f64 v[63:64], v[64:65], v[85:86], -v[30:31]
	v_fma_f64 v[85:86], v[38:39], v[85:86], v[32:33]
	ds_read2_b64 v[30:33], v48 offset0:32 offset1:232
	v_mul_f64 v[38:39], v[66:67], v[107:108]
	v_fma_f64 v[65:66], v[66:67], v[105:106], -v[59:60]
	s_waitcnt lgkmcnt(0)
	v_mul_f64 v[59:60], v[30:31], v[115:116]
	v_fma_f64 v[107:108], v[30:31], v[113:114], v[61:62]
	v_fma_f64 v[87:88], v[40:41], v[105:106], v[38:39]
	ds_read2_b64 v[38:41], v49 offset0:48 offset1:248
	s_waitcnt vmcnt(5)
	v_mul_f64 v[105:106], v[32:33], v[24:25]
	v_fma_f64 v[67:68], v[68:69], v[113:114], -v[59:60]
	v_mul_f64 v[24:25], v[70:71], v[24:25]
	ds_read2_b64 v[59:62], v20 offset1:200
	v_fma_f64 v[69:70], v[70:71], v[22:23], -v[105:106]
	s_waitcnt vmcnt(4) lgkmcnt(0)
	v_mul_f64 v[105:106], v[59:60], v[103:104]
	v_fma_f64 v[32:33], v[32:33], v[22:23], v[24:25]
	s_waitcnt vmcnt(3)
	v_mul_f64 v[30:31], v[38:39], v[36:37]
	v_mul_f64 v[36:37], v[89:90], v[36:37]
	ds_read2_b64 v[22:25], v50 offset0:16 offset1:216
	v_mul_f64 v[103:104], v[93:94], v[103:104]
	v_fma_f64 v[89:90], v[89:90], v[34:35], -v[30:31]
	v_fma_f64 v[34:35], v[38:39], v[34:35], v[36:37]
	s_waitcnt lgkmcnt(0)
	v_mul_f64 v[30:31], v[22:23], v[111:112]
	v_fma_f64 v[38:39], v[93:94], v[101:102], -v[105:106]
	s_waitcnt vmcnt(2)
	v_mul_f64 v[93:94], v[40:41], v[53:54]
	v_mul_f64 v[36:37], v[97:98], v[111:112]
	v_fma_f64 v[59:60], v[59:60], v[101:102], v[103:104]
	v_add_f64 v[103:104], v[72:73], -v[107:108]
	v_add_f64 v[105:106], v[123:124], -v[74:75]
	v_add_f64 v[111:112], v[85:86], v[34:35]
	v_fma_f64 v[97:98], v[97:98], v[109:110], -v[30:31]
	v_mul_f64 v[30:31], v[91:92], v[53:54]
	v_add_f64 v[53:54], v[74:75], v[67:68]
	v_fma_f64 v[91:92], v[91:92], v[51:52], -v[93:94]
	s_waitcnt vmcnt(1)
	v_mul_f64 v[93:94], v[61:62], v[28:29]
	v_fma_f64 v[22:23], v[22:23], v[109:110], v[36:37]
	v_add_f64 v[36:37], v[0:1], v[123:124]
	v_mul_f64 v[101:102], v[95:96], v[28:29]
	v_add_f64 v[109:110], v[38:39], -v[67:68]
	v_fma_f64 v[40:41], v[40:41], v[51:52], v[30:31]
	v_fma_f64 v[51:52], v[53:54], -0.5, v[0:1]
	v_add_f64 v[53:54], v[117:118], -v[59:60]
	v_fma_f64 v[93:94], v[95:96], v[26:27], -v[93:94]
	v_add_f64 v[95:96], v[123:124], v[38:39]
	v_add_f64 v[36:37], v[36:37], v[74:75]
	v_fma_f64 v[26:27], v[61:62], v[26:27], v[101:102]
	s_waitcnt vmcnt(0)
	v_mul_f64 v[61:62], v[24:25], v[57:58]
	v_mul_f64 v[57:58], v[99:100], v[57:58]
	ds_read2_b64 v[28:31], v44 offset1:200
	v_fma_f64 v[101:102], v[53:54], s[4:5], v[51:52]
	v_fma_f64 v[51:52], v[53:54], s[14:15], v[51:52]
	v_fma_f64 v[0:1], v[95:96], -0.5, v[0:1]
	v_add_f64 v[36:37], v[36:37], v[67:68]
	v_add_f64 v[95:96], v[105:106], v[109:110]
	v_fma_f64 v[61:62], v[99:100], v[55:56], -v[61:62]
	v_fma_f64 v[24:25], v[24:25], v[55:56], v[57:58]
	v_add_f64 v[57:58], v[72:73], v[107:108]
	v_fma_f64 v[55:56], v[103:104], s[6:7], v[101:102]
	v_fma_f64 v[51:52], v[103:104], s[16:17], v[51:52]
	v_fma_f64 v[99:100], v[103:104], s[14:15], v[0:1]
	v_add_f64 v[101:102], v[74:75], -v[123:124]
	v_add_f64 v[105:106], v[67:68], -v[38:39]
	v_add_f64 v[36:37], v[36:37], v[38:39]
	v_fma_f64 v[0:1], v[103:104], s[4:5], v[0:1]
	s_waitcnt lgkmcnt(0)
	v_add_f64 v[103:104], v[28:29], v[117:118]
	v_fma_f64 v[57:58], v[57:58], -0.5, v[28:29]
	v_add_f64 v[38:39], v[123:124], -v[38:39]
	v_fma_f64 v[55:56], v[95:96], s[8:9], v[55:56]
	v_fma_f64 v[51:52], v[95:96], s[8:9], v[51:52]
	v_fma_f64 v[95:96], v[53:54], s[6:7], v[99:100]
	v_add_f64 v[99:100], v[101:102], v[105:106]
	v_add_f64 v[101:102], v[117:118], v[59:60]
	v_fma_f64 v[0:1], v[53:54], s[16:17], v[0:1]
	v_add_f64 v[53:54], v[103:104], v[72:73]
	v_fma_f64 v[103:104], v[38:39], s[14:15], v[57:58]
	v_add_f64 v[67:68], v[74:75], -v[67:68]
	v_add_f64 v[74:75], v[117:118], -v[72:73]
	;; [unrolled: 1-line block ×3, first 2 shown]
	v_fma_f64 v[57:58], v[38:39], s[4:5], v[57:58]
	v_fma_f64 v[28:29], v[101:102], -0.5, v[28:29]
	v_fma_f64 v[95:96], v[99:100], s[8:9], v[95:96]
	v_fma_f64 v[0:1], v[99:100], s[8:9], v[0:1]
	v_add_f64 v[53:54], v[53:54], v[107:108]
	v_add_f64 v[99:100], v[18:19], v[125:126]
	v_fma_f64 v[101:102], v[67:68], s[16:17], v[103:104]
	v_add_f64 v[74:75], v[74:75], v[105:106]
	v_fma_f64 v[57:58], v[67:68], s[6:7], v[57:58]
	v_fma_f64 v[103:104], v[67:68], s[4:5], v[28:29]
	v_add_f64 v[71:72], v[72:73], -v[117:118]
	v_add_f64 v[105:106], v[107:108], -v[59:60]
	v_fma_f64 v[28:29], v[67:68], s[14:15], v[28:29]
	v_add_f64 v[67:68], v[99:100], v[63:64]
	v_add_f64 v[53:54], v[53:54], v[59:60]
	v_fma_f64 v[59:60], v[74:75], s[8:9], v[101:102]
	v_fma_f64 v[57:58], v[74:75], s[8:9], v[57:58]
	;; [unrolled: 1-line block ×3, first 2 shown]
	v_add_f64 v[101:102], v[125:126], -v[63:64]
	v_add_f64 v[103:104], v[97:98], -v[89:90]
	v_add_f64 v[99:100], v[63:64], v[89:90]
	v_add_f64 v[71:72], v[71:72], v[105:106]
	v_fma_f64 v[28:29], v[38:39], s[6:7], v[28:29]
	v_add_f64 v[38:39], v[67:68], v[89:90]
	v_add_f64 v[105:106], v[125:126], v[97:98]
	v_add_f64 v[107:108], v[63:64], -v[125:126]
	v_add_f64 v[109:110], v[89:90], -v[97:98]
	v_add_f64 v[101:102], v[101:102], v[103:104]
	v_add_f64 v[103:104], v[127:128], v[22:23]
	v_fma_f64 v[67:68], v[99:100], -0.5, v[18:19]
	v_add_f64 v[115:116], v[85:86], -v[34:35]
	v_add_f64 v[38:39], v[38:39], v[97:98]
	v_fma_f64 v[18:19], v[105:106], -0.5, v[18:19]
	v_add_f64 v[97:98], v[125:126], -v[97:98]
	;; [unrolled: 3-line block ×3, first 2 shown]
	v_add_f64 v[89:90], v[127:128], -v[85:86]
	v_add_f64 v[109:110], v[22:23], -v[34:35]
	v_fma_f64 v[103:104], v[103:104], -0.5, v[121:122]
	v_add_f64 v[111:112], v[85:86], -v[127:128]
	v_add_f64 v[117:118], v[34:35], -v[22:23]
	;; [unrolled: 1-line block ×3, first 2 shown]
	v_add_f64 v[121:122], v[121:122], v[127:128]
	v_fma_f64 v[123:124], v[97:98], s[14:15], v[107:108]
	v_fma_f64 v[107:108], v[97:98], s[4:5], v[107:108]
	v_add_f64 v[89:90], v[89:90], v[109:110]
	v_fma_f64 v[109:110], v[63:64], s[4:5], v[103:104]
	v_fma_f64 v[103:104], v[63:64], s[14:15], v[103:104]
	;; [unrolled: 3-line block ×3, first 2 shown]
	v_fma_f64 v[67:68], v[99:100], s[14:15], v[67:68]
	v_fma_f64 v[18:19], v[115:116], s[14:15], v[18:19]
	;; [unrolled: 1-line block ×4, first 2 shown]
	v_add_f64 v[85:86], v[121:122], v[85:86]
	v_fma_f64 v[97:98], v[97:98], s[6:7], v[103:104]
	v_fma_f64 v[117:118], v[99:100], s[16:17], v[117:118]
	v_fma_f64 v[113:114], v[115:116], s[6:7], v[113:114]
	v_fma_f64 v[67:68], v[115:116], s[16:17], v[67:68]
	v_fma_f64 v[18:19], v[99:100], s[6:7], v[18:19]
	v_fma_f64 v[99:100], v[89:90], s[8:9], v[123:124]
	v_fma_f64 v[103:104], v[111:112], s[8:9], v[109:110]
	v_add_f64 v[34:35], v[85:86], v[34:35]
	v_fma_f64 v[63:64], v[63:64], s[6:7], v[107:108]
	v_fma_f64 v[109:110], v[105:106], s[8:9], v[117:118]
	;; [unrolled: 1-line block ×6, first 2 shown]
	v_mul_f64 v[97:98], v[99:100], s[6:7]
	v_mul_f64 v[101:102], v[103:104], s[4:5]
	v_add_f64 v[22:23], v[34:35], v[22:23]
	v_mul_f64 v[105:106], v[109:110], s[8:9]
	v_fma_f64 v[34:35], v[89:90], s[8:9], v[63:64]
	v_fma_f64 v[73:74], v[71:72], s[8:9], v[73:74]
	;; [unrolled: 1-line block ×3, first 2 shown]
	v_mul_f64 v[71:72], v[67:68], s[18:19]
	v_fma_f64 v[89:90], v[113:114], s[18:19], v[97:98]
	v_fma_f64 v[97:98], v[18:19], s[8:9], v[101:102]
	v_add_f64 v[63:64], v[36:37], v[38:39]
	v_fma_f64 v[101:102], v[85:86], s[4:5], -v[105:106]
	v_mul_f64 v[85:86], v[85:86], s[8:9]
	v_mul_f64 v[107:108], v[34:35], s[18:19]
	;; [unrolled: 1-line block ×4, first 2 shown]
	v_fma_f64 v[34:35], v[34:35], s[6:7], -v[71:72]
	v_add_f64 v[71:72], v[55:56], v[89:90]
	v_add_f64 v[111:112], v[95:96], v[97:98]
	v_add_f64 v[36:37], v[36:37], -v[38:39]
	v_fma_f64 v[85:86], v[109:110], s[14:15], -v[85:86]
	v_fma_f64 v[67:68], v[67:68], s[16:17], -v[107:108]
	v_add_f64 v[107:108], v[2:3], v[42:43]
	v_add_f64 v[109:110], v[78:79], v[69:70]
	v_fma_f64 v[99:100], v[99:100], s[18:19], v[105:106]
	v_add_f64 v[105:106], v[53:54], v[22:23]
	v_add_f64 v[38:39], v[55:56], -v[89:90]
	v_add_f64 v[95:96], v[95:96], -v[97:98]
	;; [unrolled: 1-line block ×3, first 2 shown]
	v_add_f64 v[22:23], v[42:43], v[93:94]
	v_add_f64 v[55:56], v[107:108], v[78:79]
	v_fma_f64 v[89:90], v[109:110], -0.5, v[2:3]
	v_add_f64 v[107:108], v[119:120], -v[26:27]
	v_add_f64 v[113:114], v[0:1], v[101:102]
	v_fma_f64 v[18:19], v[103:104], s[8:9], v[18:19]
	v_add_f64 v[103:104], v[51:52], v[34:35]
	v_add_f64 v[115:116], v[59:60], v[99:100]
	v_add_f64 v[0:1], v[0:1], -v[101:102]
	v_add_f64 v[34:35], v[51:52], -v[34:35]
	;; [unrolled: 1-line block ×3, first 2 shown]
	v_add_f64 v[51:52], v[55:56], v[69:70]
	v_fma_f64 v[53:54], v[107:108], s[4:5], v[89:90]
	v_add_f64 v[55:56], v[76:77], -v[32:33]
	v_add_f64 v[99:100], v[42:43], -v[78:79]
	;; [unrolled: 1-line block ×3, first 2 shown]
	v_fma_f64 v[2:3], v[22:23], -0.5, v[2:3]
	v_add_f64 v[121:122], v[28:29], v[85:86]
	v_add_f64 v[85:86], v[28:29], -v[85:86]
	v_add_f64 v[28:29], v[76:77], v[32:33]
	v_add_f64 v[117:118], v[73:74], v[18:19]
	;; [unrolled: 1-line block ×3, first 2 shown]
	v_add_f64 v[73:74], v[73:74], -v[18:19]
	v_add_f64 v[57:58], v[57:58], -v[67:68]
	v_add_f64 v[18:19], v[51:52], v[93:94]
	v_fma_f64 v[22:23], v[55:56], s[6:7], v[53:54]
	v_add_f64 v[51:52], v[99:100], v[101:102]
	v_fma_f64 v[53:54], v[107:108], s[14:15], v[89:90]
	v_fma_f64 v[67:68], v[55:56], s[14:15], v[2:3]
	v_add_f64 v[89:90], v[78:79], -v[42:43]
	v_add_f64 v[99:100], v[69:70], -v[93:94]
	v_fma_f64 v[28:29], v[28:29], -0.5, v[30:31]
	v_add_f64 v[42:43], v[42:43], -v[93:94]
	v_fma_f64 v[2:3], v[55:56], s[4:5], v[2:3]
	v_add_f64 v[101:102], v[30:31], v[119:120]
	v_fma_f64 v[53:54], v[55:56], s[16:17], v[53:54]
	v_fma_f64 v[55:56], v[107:108], s[6:7], v[67:68]
	v_add_f64 v[69:70], v[78:79], -v[69:70]
	v_add_f64 v[67:68], v[89:90], v[99:100]
	v_add_f64 v[89:90], v[119:120], v[26:27]
	v_fma_f64 v[99:100], v[42:43], s[14:15], v[28:29]
	v_add_f64 v[78:79], v[119:120], -v[76:77]
	v_add_f64 v[93:94], v[101:102], v[76:77]
	v_add_f64 v[101:102], v[26:27], -v[32:33]
	v_fma_f64 v[2:3], v[107:108], s[16:17], v[2:3]
	v_fma_f64 v[28:29], v[42:43], s[4:5], v[28:29]
	;; [unrolled: 1-line block ×3, first 2 shown]
	v_fma_f64 v[30:31], v[89:90], -0.5, v[30:31]
	v_fma_f64 v[89:90], v[69:70], s[16:17], v[99:100]
	v_add_f64 v[99:100], v[6:7], v[10:11]
	v_fma_f64 v[51:52], v[51:52], s[8:9], v[53:54]
	v_fma_f64 v[53:54], v[67:68], s[8:9], v[55:56]
	v_add_f64 v[55:56], v[93:94], v[32:33]
	v_add_f64 v[78:79], v[78:79], v[101:102]
	v_add_f64 v[75:76], v[76:77], -v[119:120]
	v_fma_f64 v[93:94], v[69:70], s[4:5], v[30:31]
	v_add_f64 v[32:33], v[32:33], -v[26:27]
	v_fma_f64 v[2:3], v[67:68], s[8:9], v[2:3]
	v_add_f64 v[67:68], v[65:66], v[91:92]
	v_fma_f64 v[28:29], v[69:70], s[6:7], v[28:29]
	v_fma_f64 v[30:31], v[69:70], s[14:15], v[30:31]
	v_add_f64 v[69:70], v[99:100], v[65:66]
	v_add_f64 v[26:27], v[55:56], v[26:27]
	v_fma_f64 v[55:56], v[78:79], s[8:9], v[89:90]
	v_fma_f64 v[89:90], v[42:43], s[16:17], v[93:94]
	v_add_f64 v[32:33], v[75:76], v[32:33]
	v_fma_f64 v[67:68], v[67:68], -0.5, v[6:7]
	v_add_f64 v[101:102], v[8:9], -v[24:25]
	v_fma_f64 v[30:31], v[42:43], s[6:7], v[30:31]
	v_add_f64 v[42:43], v[69:70], v[91:92]
	v_fma_f64 v[28:29], v[78:79], s[8:9], v[28:29]
	v_add_f64 v[77:78], v[10:11], v[61:62]
	v_add_f64 v[99:100], v[10:11], -v[65:66]
	v_fma_f64 v[69:70], v[32:33], s[8:9], v[89:90]
	v_add_f64 v[89:90], v[87:88], v[40:41]
	v_fma_f64 v[75:76], v[101:102], s[4:5], v[67:68]
	v_fma_f64 v[30:31], v[32:33], s[8:9], v[30:31]
	v_add_f64 v[32:33], v[42:43], v[61:62]
	v_fma_f64 v[42:43], v[101:102], s[14:15], v[67:68]
	v_add_f64 v[67:68], v[8:9], v[24:25]
	v_add_f64 v[107:108], v[61:62], -v[91:92]
	v_fma_f64 v[6:7], v[77:78], -0.5, v[6:7]
	v_fma_f64 v[77:78], v[89:90], -0.5, v[4:5]
	v_add_f64 v[89:90], v[10:11], -v[61:62]
	v_add_f64 v[93:94], v[87:88], -v[40:41]
	;; [unrolled: 1-line block ×5, first 2 shown]
	v_fma_f64 v[67:68], v[67:68], -0.5, v[4:5]
	v_add_f64 v[99:100], v[99:100], v[107:108]
	v_add_f64 v[109:110], v[8:9], -v[87:88]
	v_fma_f64 v[107:108], v[89:90], s[14:15], v[77:78]
	v_add_f64 v[119:120], v[24:25], -v[40:41]
	v_add_f64 v[4:5], v[4:5], v[8:9]
	v_fma_f64 v[91:92], v[93:94], s[14:15], v[6:7]
	v_add_f64 v[10:11], v[10:11], v[61:62]
	v_fma_f64 v[61:62], v[65:66], s[4:5], v[67:68]
	v_add_f64 v[8:9], v[87:88], -v[8:9]
	v_add_f64 v[125:126], v[40:41], -v[24:25]
	v_fma_f64 v[6:7], v[93:94], s[4:5], v[6:7]
	v_fma_f64 v[75:76], v[93:94], s[6:7], v[75:76]
	;; [unrolled: 1-line block ×4, first 2 shown]
	v_add_f64 v[107:108], v[109:110], v[119:120]
	v_add_f64 v[4:5], v[4:5], v[87:88]
	v_fma_f64 v[77:78], v[89:90], s[4:5], v[77:78]
	v_fma_f64 v[67:68], v[65:66], s[14:15], v[67:68]
	v_fma_f64 v[61:62], v[89:90], s[16:17], v[61:62]
	v_add_f64 v[8:9], v[8:9], v[125:126]
	v_fma_f64 v[6:7], v[101:102], s[16:17], v[6:7]
	v_fma_f64 v[87:88], v[101:102], s[6:7], v[91:92]
	v_fma_f64 v[91:92], v[107:108], s[8:9], v[93:94]
	;; [unrolled: 4-line block ×3, first 2 shown]
	v_fma_f64 v[61:62], v[8:9], s[8:9], v[61:62]
	v_fma_f64 v[6:7], v[10:11], s[8:9], v[6:7]
	;; [unrolled: 1-line block ×3, first 2 shown]
	v_mul_f64 v[67:68], v[91:92], s[6:7]
	v_fma_f64 v[10:11], v[10:11], s[8:9], v[87:88]
	v_add_f64 v[4:5], v[4:5], v[24:25]
	v_fma_f64 v[8:9], v[8:9], s[8:9], v[65:66]
	v_fma_f64 v[24:25], v[107:108], s[8:9], v[40:41]
	v_mul_f64 v[65:66], v[61:62], s[4:5]
	v_mul_f64 v[77:78], v[6:7], s[8:9]
	;; [unrolled: 1-line block ×3, first 2 shown]
	v_fma_f64 v[67:68], v[75:76], s[18:19], v[67:68]
	v_mul_f64 v[75:76], v[75:76], s[16:17]
	v_mul_f64 v[89:90], v[10:11], s[14:15]
	;; [unrolled: 1-line block ×4, first 2 shown]
	v_fma_f64 v[10:11], v[10:11], s[8:9], v[65:66]
	v_fma_f64 v[8:9], v[8:9], s[4:5], -v[77:78]
	v_fma_f64 v[24:25], v[24:25], s[6:7], -v[87:88]
	v_add_f64 v[40:41], v[18:19], v[32:33]
	v_fma_f64 v[75:76], v[91:92], s[18:19], v[75:76]
	v_fma_f64 v[61:62], v[61:62], s[8:9], v[89:90]
	v_fma_f64 v[6:7], v[6:7], s[14:15], -v[93:94]
	v_fma_f64 v[42:43], v[42:43], s[16:17], -v[99:100]
	v_add_f64 v[65:66], v[22:23], v[67:68]
	v_add_f64 v[77:78], v[53:54], v[10:11]
	;; [unrolled: 1-line block ×4, first 2 shown]
	v_add_f64 v[18:19], v[18:19], -v[32:33]
	v_add_f64 v[91:92], v[26:27], v[4:5]
	v_add_f64 v[22:23], v[22:23], -v[67:68]
	v_add_f64 v[10:11], v[53:54], -v[10:11]
	;; [unrolled: 1-line block ×3, first 2 shown]
	v_mov_b32_e32 v5, 3
	v_add_f64 v[2:3], v[2:3], -v[8:9]
	v_add_f64 v[8:9], v[51:52], -v[24:25]
	v_mul_u32_u24_e32 v4, 0x320, v14
	v_lshlrev_b32_sdwa v5, v5, v15 dst_sel:DWORD dst_unused:UNUSED_PAD src0_sel:DWORD src1_sel:BYTE_0
	v_add_f64 v[93:94], v[55:56], v[75:76]
	v_add3_u32 v14, 0, v4, v5
	v_add_f64 v[99:100], v[69:70], v[61:62]
	v_add_f64 v[101:102], v[30:31], v[6:7]
	s_barrier
	ds_write2_b64 v14, v[63:64], v[71:72] offset1:10
	ds_write2_b64 v14, v[111:112], v[113:114] offset0:20 offset1:30
	ds_write2_b64 v14, v[103:104], v[36:37] offset0:40 offset1:50
	;; [unrolled: 1-line block ×4, first 2 shown]
	v_mul_u32_u24_e32 v0, 0x320, v16
	v_lshlrev_b32_e32 v1, 3, v17
	v_add_f64 v[107:108], v[28:29], v[42:43]
	v_add3_u32 v15, 0, v0, v1
	v_add_f64 v[55:56], v[55:56], -v[75:76]
	v_add_f64 v[61:62], v[69:70], -v[61:62]
	;; [unrolled: 1-line block ×4, first 2 shown]
	ds_write2_b64 v15, v[40:41], v[65:66] offset1:10
	ds_write2_b64 v15, v[77:78], v[87:88] offset0:20 offset1:30
	ds_write2_b64 v15, v[89:90], v[18:19] offset0:40 offset1:50
	;; [unrolled: 1-line block ×4, first 2 shown]
	s_waitcnt lgkmcnt(0)
	s_barrier
	ds_read2_b64 v[0:3], v44 offset1:200
	ds_read2_b64 v[4:7], v12 offset0:16 offset1:216
	ds_read2_b64 v[8:11], v46 offset0:32 offset1:232
	ds_read2_b64 v[16:19], v21 offset0:48 offset1:248
	ds_read2_b64 v[22:25], v47 offset1:200
	ds_read2_b64 v[26:29], v45 offset0:16 offset1:216
	ds_read2_b64 v[30:33], v48 offset0:32 offset1:232
	;; [unrolled: 1-line block ×3, first 2 shown]
	ds_read2_b64 v[40:43], v20 offset1:200
	ds_read2_b64 v[51:54], v50 offset0:16 offset1:216
	s_waitcnt lgkmcnt(0)
	s_barrier
	ds_write2_b64 v14, v[105:106], v[115:116] offset1:10
	ds_write2_b64 v14, v[117:118], v[121:122] offset0:20 offset1:30
	ds_write2_b64 v14, v[123:124], v[97:98] offset0:40 offset1:50
	;; [unrolled: 1-line block ×4, first 2 shown]
	ds_write2_b64 v15, v[91:92], v[93:94] offset1:10
	ds_write2_b64 v15, v[99:100], v[101:102] offset0:20 offset1:30
	ds_write2_b64 v15, v[107:108], v[67:68] offset0:40 offset1:50
	;; [unrolled: 1-line block ×4, first 2 shown]
	v_add_u32_e32 v14, 0xffffff9c, v84
	v_cndmask_b32_e64 v14, v14, v84, s[0:1]
	v_mul_i32_i24_e32 v38, 9, v14
	v_mov_b32_e32 v39, 0
	v_lshlrev_b64 v[55:56], 4, v[38:39]
	v_mov_b32_e32 v15, s13
	v_add_co_u32_e64 v117, s[0:1], s12, v55
	v_addc_co_u32_e64 v118, s[0:1], v15, v56, s[0:1]
	s_waitcnt lgkmcnt(0)
	s_barrier
	global_load_dwordx4 v[55:58], v[117:118], off offset:1440
	global_load_dwordx4 v[59:62], v[117:118], off offset:1456
	v_lshrrev_b16_e32 v15, 2, v13
	v_mul_u32_u24_e32 v15, 0x147b, v15
	v_lshrrev_b32_e32 v15, 17, v15
	v_mul_lo_u16_e32 v38, 0x64, v15
	v_sub_u16_e32 v13, v13, v38
	v_mul_u32_u24_e32 v38, 9, v13
	v_lshlrev_b32_e32 v38, 4, v38
	global_load_dwordx4 v[63:66], v38, s[12:13] offset:1440
	global_load_dwordx4 v[67:70], v38, s[12:13] offset:1456
	global_load_dwordx4 v[71:74], v[117:118], off offset:1472
	global_load_dwordx4 v[75:78], v38, s[12:13] offset:1472
	global_load_dwordx4 v[85:88], v[117:118], off offset:1488
	;; [unrolled: 2-line block ×3, first 2 shown]
	ds_read2_b64 v[97:100], v12 offset0:16 offset1:216
	ds_read2_b64 v[105:108], v46 offset0:32 offset1:232
	global_load_dwordx4 v[101:104], v38, s[12:13] offset:1504
	global_load_dwordx4 v[113:116], v38, s[12:13] offset:1520
	global_load_dwordx4 v[109:112], v[117:118], off offset:1520
	s_movk_i32 s0, 0x63
	v_cmp_lt_u32_e64 s[0:1], s0, v84
	s_waitcnt vmcnt(11) lgkmcnt(1)
	v_mul_f64 v[119:120], v[97:98], v[57:58]
	s_waitcnt vmcnt(10) lgkmcnt(0)
	v_mul_f64 v[121:122], v[105:106], v[61:62]
	v_mul_f64 v[57:58], v[4:5], v[57:58]
	;; [unrolled: 1-line block ×3, first 2 shown]
	s_waitcnt vmcnt(8)
	v_mul_f64 v[125:126], v[107:108], v[69:70]
	v_fma_f64 v[119:120], v[4:5], v[55:56], -v[119:120]
	v_mul_f64 v[4:5], v[99:100], v[65:66]
	v_fma_f64 v[121:122], v[8:9], v[59:60], -v[121:122]
	v_mul_f64 v[8:9], v[6:7], v[65:66]
	v_fma_f64 v[105:106], v[105:106], v[59:60], v[61:62]
	global_load_dwordx4 v[59:62], v[117:118], off offset:1536
	v_fma_f64 v[123:124], v[97:98], v[55:56], v[57:58]
	global_load_dwordx4 v[55:58], v[117:118], off offset:1568
	v_fma_f64 v[6:7], v[6:7], v[63:64], -v[4:5]
	v_fma_f64 v[4:5], v[99:100], v[63:64], v[8:9]
	global_load_dwordx4 v[63:66], v[117:118], off offset:1552
	v_mul_f64 v[8:9], v[10:11], v[69:70]
	ds_read2_b64 v[97:100], v21 offset0:48 offset1:248
	v_fma_f64 v[117:118], v[10:11], v[67:68], -v[125:126]
	s_waitcnt vmcnt(10) lgkmcnt(0)
	v_mul_f64 v[10:11], v[97:98], v[73:74]
	v_mul_f64 v[73:74], v[16:17], v[73:74]
	v_fma_f64 v[107:108], v[107:108], v[67:68], v[8:9]
	global_load_dwordx4 v[67:70], v38, s[12:13] offset:1536
	s_waitcnt vmcnt(10)
	v_mul_f64 v[8:9], v[99:100], v[77:78]
	v_mul_f64 v[77:78], v[18:19], v[77:78]
	v_fma_f64 v[125:126], v[16:17], v[71:72], -v[10:11]
	v_fma_f64 v[97:98], v[97:98], v[71:72], v[73:74]
	ds_read2_b64 v[71:74], v47 offset1:200
	v_fma_f64 v[10:11], v[18:19], v[75:76], -v[8:9]
	global_load_dwordx4 v[16:19], v38, s[12:13] offset:1552
	v_fma_f64 v[8:9], v[99:100], v[75:76], v[77:78]
	s_waitcnt vmcnt(10) lgkmcnt(0)
	v_mul_f64 v[75:76], v[71:72], v[87:88]
	v_mul_f64 v[87:88], v[22:23], v[87:88]
	v_fma_f64 v[99:100], v[22:23], v[85:86], -v[75:76]
	global_load_dwordx4 v[75:78], v38, s[12:13] offset:1568
	s_waitcnt vmcnt(10)
	v_mul_f64 v[22:23], v[73:74], v[91:92]
	v_fma_f64 v[85:86], v[71:72], v[85:86], v[87:88]
	v_mul_f64 v[71:72], v[24:25], v[91:92]
	v_fma_f64 v[87:88], v[24:25], v[89:90], -v[22:23]
	ds_read2_b64 v[22:25], v45 offset0:16 offset1:216
	v_fma_f64 v[89:90], v[73:74], v[89:90], v[71:72]
	s_waitcnt vmcnt(9)
	v_mul_f64 v[73:74], v[26:27], v[95:96]
	s_waitcnt lgkmcnt(0)
	v_mul_f64 v[71:72], v[22:23], v[95:96]
	s_waitcnt vmcnt(8)
	v_mul_f64 v[91:92], v[24:25], v[103:104]
	v_fma_f64 v[95:96], v[26:27], v[93:94], -v[71:72]
	v_fma_f64 v[93:94], v[22:23], v[93:94], v[73:74]
	ds_read2_b64 v[71:74], v48 offset0:32 offset1:232
	v_mul_f64 v[22:23], v[28:29], v[103:104]
	v_fma_f64 v[91:92], v[28:29], v[101:102], -v[91:92]
	s_waitcnt vmcnt(6)
	v_mul_f64 v[28:29], v[30:31], v[111:112]
	s_waitcnt lgkmcnt(0)
	v_mul_f64 v[26:27], v[71:72], v[111:112]
	v_mul_f64 v[103:104], v[73:74], v[115:116]
	v_fma_f64 v[101:102], v[24:25], v[101:102], v[22:23]
	ds_read2_b64 v[22:25], v49 offset0:48 offset1:248
	v_fma_f64 v[71:72], v[71:72], v[109:110], v[28:29]
	v_fma_f64 v[111:112], v[30:31], v[109:110], -v[26:27]
	v_mul_f64 v[30:31], v[32:33], v[115:116]
	ds_read2_b64 v[26:29], v20 offset1:200
	v_fma_f64 v[103:104], v[32:33], v[113:114], -v[103:104]
	s_waitcnt vmcnt(5) lgkmcnt(1)
	v_mul_f64 v[109:110], v[22:23], v[61:62]
	v_mul_f64 v[61:62], v[34:35], v[61:62]
	v_fma_f64 v[73:74], v[73:74], v[113:114], v[30:31]
	ds_read2_b64 v[30:33], v50 offset0:16 offset1:216
	s_waitcnt vmcnt(3) lgkmcnt(1)
	v_mul_f64 v[113:114], v[26:27], v[65:66]
	v_mul_f64 v[65:66], v[40:41], v[65:66]
	v_fma_f64 v[34:35], v[34:35], v[59:60], -v[109:110]
	v_fma_f64 v[59:60], v[22:23], v[59:60], v[61:62]
	s_waitcnt lgkmcnt(0)
	v_mul_f64 v[22:23], v[30:31], v[57:58]
	v_mul_f64 v[57:58], v[51:52], v[57:58]
	v_fma_f64 v[40:41], v[40:41], v[63:64], -v[113:114]
	v_fma_f64 v[26:27], v[26:27], v[63:64], v[65:66]
	s_waitcnt vmcnt(2)
	v_mul_f64 v[61:62], v[24:25], v[69:70]
	v_add_f64 v[115:116], v[93:94], -v[59:60]
	v_fma_f64 v[51:52], v[51:52], v[55:56], -v[22:23]
	v_fma_f64 v[30:31], v[30:31], v[55:56], v[57:58]
	v_mul_f64 v[22:23], v[36:37], v[69:70]
	v_add_f64 v[55:56], v[0:1], v[121:122]
	v_add_f64 v[57:58], v[99:100], v[111:112]
	v_add_f64 v[65:66], v[105:106], -v[26:27]
	v_fma_f64 v[36:37], v[36:37], v[67:68], -v[61:62]
	v_add_f64 v[69:70], v[85:86], -v[71:72]
	s_waitcnt vmcnt(1)
	v_mul_f64 v[61:62], v[28:29], v[18:19]
	v_mul_f64 v[18:19], v[42:43], v[18:19]
	v_fma_f64 v[63:64], v[24:25], v[67:68], v[22:23]
	v_add_f64 v[55:56], v[55:56], v[99:100]
	v_fma_f64 v[57:58], v[57:58], -0.5, v[0:1]
	v_add_f64 v[109:110], v[40:41], -v[111:112]
	ds_read2_b64 v[22:25], v44 offset1:200
	s_waitcnt lgkmcnt(0)
	v_fma_f64 v[42:43], v[42:43], v[16:17], -v[61:62]
	v_fma_f64 v[16:17], v[28:29], v[16:17], v[18:19]
	v_add_f64 v[28:29], v[121:122], v[40:41]
	s_waitcnt vmcnt(0)
	v_mul_f64 v[18:19], v[32:33], v[77:78]
	v_mul_f64 v[61:62], v[53:54], v[77:78]
	v_add_f64 v[55:56], v[55:56], v[111:112]
	v_fma_f64 v[67:68], v[65:66], s[4:5], v[57:58]
	v_add_f64 v[77:78], v[121:122], -v[99:100]
	v_fma_f64 v[57:58], v[65:66], s[14:15], v[57:58]
	s_barrier
	v_fma_f64 v[0:1], v[28:29], -0.5, v[0:1]
	v_fma_f64 v[18:19], v[53:54], v[75:76], -v[18:19]
	v_fma_f64 v[28:29], v[32:33], v[75:76], v[61:62]
	v_add_f64 v[32:33], v[55:56], v[40:41]
	v_fma_f64 v[53:54], v[69:70], s[6:7], v[67:68]
	v_add_f64 v[55:56], v[85:86], v[71:72]
	v_add_f64 v[61:62], v[77:78], v[109:110]
	v_fma_f64 v[57:58], v[69:70], s[16:17], v[57:58]
	v_fma_f64 v[67:68], v[69:70], s[14:15], v[0:1]
	v_add_f64 v[75:76], v[99:100], -v[121:122]
	v_add_f64 v[77:78], v[111:112], -v[40:41]
	v_fma_f64 v[0:1], v[69:70], s[4:5], v[0:1]
	v_add_f64 v[69:70], v[22:23], v[105:106]
	v_fma_f64 v[55:56], v[55:56], -0.5, v[22:23]
	v_add_f64 v[40:41], v[121:122], -v[40:41]
	v_fma_f64 v[53:54], v[61:62], s[8:9], v[53:54]
	v_fma_f64 v[57:58], v[61:62], s[8:9], v[57:58]
	;; [unrolled: 1-line block ×3, first 2 shown]
	v_add_f64 v[67:68], v[75:76], v[77:78]
	v_add_f64 v[75:76], v[105:106], v[26:27]
	v_fma_f64 v[0:1], v[65:66], s[16:17], v[0:1]
	v_add_f64 v[65:66], v[69:70], v[85:86]
	v_fma_f64 v[69:70], v[40:41], s[14:15], v[55:56]
	v_add_f64 v[77:78], v[99:100], -v[111:112]
	v_add_f64 v[99:100], v[105:106], -v[85:86]
	;; [unrolled: 1-line block ×3, first 2 shown]
	v_fma_f64 v[55:56], v[40:41], s[4:5], v[55:56]
	v_fma_f64 v[22:23], v[75:76], -0.5, v[22:23]
	v_fma_f64 v[61:62], v[67:68], s[8:9], v[61:62]
	v_fma_f64 v[0:1], v[67:68], s[8:9], v[0:1]
	v_add_f64 v[67:68], v[119:120], v[125:126]
	v_add_f64 v[65:66], v[65:66], v[71:72]
	v_fma_f64 v[69:70], v[77:78], s[16:17], v[69:70]
	v_add_f64 v[75:76], v[99:100], v[109:110]
	v_fma_f64 v[55:56], v[77:78], s[6:7], v[55:56]
	v_fma_f64 v[99:100], v[77:78], s[4:5], v[22:23]
	v_add_f64 v[85:86], v[85:86], -v[105:106]
	v_add_f64 v[71:72], v[71:72], -v[26:27]
	v_fma_f64 v[22:23], v[77:78], s[14:15], v[22:23]
	v_add_f64 v[67:68], v[67:68], v[95:96]
	v_add_f64 v[77:78], v[95:96], v[34:35]
	;; [unrolled: 1-line block ×3, first 2 shown]
	v_fma_f64 v[65:66], v[75:76], s[8:9], v[69:70]
	v_fma_f64 v[69:70], v[40:41], s[16:17], v[99:100]
	v_add_f64 v[99:100], v[125:126], v[51:52]
	v_add_f64 v[71:72], v[85:86], v[71:72]
	v_fma_f64 v[22:23], v[40:41], s[6:7], v[22:23]
	v_add_f64 v[40:41], v[67:68], v[34:35]
	v_fma_f64 v[67:68], v[77:78], -0.5, v[119:120]
	v_add_f64 v[77:78], v[125:126], -v[95:96]
	v_add_f64 v[85:86], v[51:52], -v[34:35]
	;; [unrolled: 1-line block ×4, first 2 shown]
	v_add_f64 v[111:112], v[93:94], v[59:60]
	v_fma_f64 v[99:100], v[99:100], -0.5, v[119:120]
	v_add_f64 v[119:120], v[93:94], -v[97:98]
	v_add_f64 v[121:122], v[59:60], -v[30:31]
	v_fma_f64 v[55:56], v[75:76], s[8:9], v[55:56]
	v_add_f64 v[77:78], v[77:78], v[85:86]
	v_add_f64 v[85:86], v[97:98], v[30:31]
	v_add_f64 v[75:76], v[97:98], -v[30:31]
	v_add_f64 v[40:41], v[40:41], v[51:52]
	v_add_f64 v[105:106], v[105:106], v[109:110]
	v_fma_f64 v[109:110], v[111:112], -0.5, v[123:124]
	v_add_f64 v[51:52], v[125:126], -v[51:52]
	v_add_f64 v[34:35], v[95:96], -v[34:35]
	;; [unrolled: 1-line block ×4, first 2 shown]
	v_fma_f64 v[85:86], v[85:86], -0.5, v[123:124]
	v_add_f64 v[97:98], v[123:124], v[97:98]
	v_add_f64 v[119:120], v[119:120], v[121:122]
	v_fma_f64 v[121:122], v[115:116], s[4:5], v[99:100]
	v_fma_f64 v[123:124], v[51:52], s[14:15], v[109:110]
	;; [unrolled: 1-line block ×4, first 2 shown]
	v_add_f64 v[95:96], v[95:96], v[111:112]
	v_fma_f64 v[111:112], v[34:35], s[4:5], v[85:86]
	v_fma_f64 v[85:86], v[34:35], s[14:15], v[85:86]
	v_add_f64 v[93:94], v[97:98], v[93:94]
	v_fma_f64 v[121:122], v[75:76], s[16:17], v[121:122]
	v_fma_f64 v[97:98], v[51:52], s[4:5], v[109:110]
	;; [unrolled: 1-line block ×16, first 2 shown]
	v_mul_f64 v[97:98], v[109:110], s[8:9]
	v_fma_f64 v[34:35], v[95:96], s[8:9], v[34:35]
	v_fma_f64 v[75:76], v[105:106], s[8:9], v[75:76]
	v_mul_f64 v[77:78], v[85:86], s[6:7]
	v_fma_f64 v[69:70], v[71:72], s[8:9], v[69:70]
	v_add_f64 v[59:60], v[93:94], v[59:60]
	v_mul_f64 v[93:94], v[99:100], s[4:5]
	v_fma_f64 v[22:23], v[71:72], s[8:9], v[22:23]
	v_fma_f64 v[95:96], v[51:52], s[4:5], -v[97:98]
	v_mul_f64 v[51:52], v[51:52], s[8:9]
	v_mul_f64 v[105:106], v[34:35], s[18:19]
	;; [unrolled: 1-line block ×3, first 2 shown]
	v_fma_f64 v[77:78], v[113:114], s[18:19], v[77:78]
	v_mul_f64 v[97:98], v[113:114], s[16:17]
	v_add_f64 v[30:31], v[59:60], v[30:31]
	v_add_f64 v[59:60], v[32:33], v[40:41]
	v_fma_f64 v[93:94], v[75:76], s[8:9], v[93:94]
	v_fma_f64 v[51:52], v[109:110], s[14:15], -v[51:52]
	v_fma_f64 v[67:68], v[67:68], s[16:17], -v[105:106]
	v_add_f64 v[105:106], v[2:3], v[117:118]
	v_add_f64 v[109:110], v[87:88], v[103:104]
	v_mul_f64 v[75:76], v[75:76], s[14:15]
	v_fma_f64 v[34:35], v[34:35], s[6:7], -v[71:72]
	v_add_f64 v[71:72], v[53:54], v[77:78]
	v_fma_f64 v[85:86], v[85:86], s[18:19], v[97:98]
	v_add_f64 v[32:33], v[32:33], -v[40:41]
	v_add_f64 v[40:41], v[53:54], -v[77:78]
	v_add_f64 v[53:54], v[105:106], v[87:88]
	v_fma_f64 v[77:78], v[109:110], -0.5, v[2:3]
	v_add_f64 v[105:106], v[107:108], -v[16:17]
	v_fma_f64 v[75:76], v[99:100], s[8:9], v[75:76]
	v_add_f64 v[97:98], v[57:58], v[34:35]
	v_add_f64 v[99:100], v[26:27], v[30:31]
	;; [unrolled: 1-line block ×3, first 2 shown]
	v_add_f64 v[34:35], v[57:58], -v[34:35]
	v_add_f64 v[57:58], v[26:27], -v[30:31]
	v_add_f64 v[26:27], v[117:118], v[42:43]
	v_add_f64 v[65:66], v[65:66], -v[85:86]
	v_add_f64 v[30:31], v[53:54], v[103:104]
	v_fma_f64 v[53:54], v[105:106], s[4:5], v[77:78]
	v_add_f64 v[85:86], v[89:90], -v[73:74]
	v_add_f64 v[111:112], v[61:62], v[93:94]
	v_add_f64 v[113:114], v[0:1], v[95:96]
	;; [unrolled: 1-line block ×4, first 2 shown]
	v_add_f64 v[61:62], v[61:62], -v[93:94]
	v_add_f64 v[0:1], v[0:1], -v[95:96]
	;; [unrolled: 1-line block ×5, first 2 shown]
	v_fma_f64 v[2:3], v[26:27], -0.5, v[2:3]
	v_add_f64 v[75:76], v[22:23], -v[51:52]
	v_add_f64 v[22:23], v[30:31], v[42:43]
	v_fma_f64 v[26:27], v[85:86], s[6:7], v[53:54]
	v_add_f64 v[30:31], v[89:90], v[73:74]
	v_fma_f64 v[53:54], v[105:106], s[14:15], v[77:78]
	v_add_f64 v[123:124], v[55:56], v[67:68]
	v_add_f64 v[55:56], v[55:56], -v[67:68]
	v_add_f64 v[51:52], v[93:94], v[95:96]
	v_fma_f64 v[67:68], v[85:86], s[14:15], v[2:3]
	v_add_f64 v[77:78], v[87:88], -v[117:118]
	v_add_f64 v[93:94], v[103:104], -v[42:43]
	v_fma_f64 v[2:3], v[85:86], s[4:5], v[2:3]
	v_add_f64 v[95:96], v[24:25], v[107:108]
	v_fma_f64 v[30:31], v[30:31], -0.5, v[24:25]
	v_add_f64 v[42:43], v[117:118], -v[42:43]
	v_fma_f64 v[53:54], v[85:86], s[16:17], v[53:54]
	v_add_f64 v[85:86], v[107:108], v[16:17]
	v_fma_f64 v[67:68], v[105:106], s[6:7], v[67:68]
	v_add_f64 v[77:78], v[77:78], v[93:94]
	;; [unrolled: 2-line block ×3, first 2 shown]
	v_add_f64 v[87:88], v[87:88], -v[103:104]
	v_fma_f64 v[95:96], v[42:43], s[14:15], v[30:31]
	v_add_f64 v[103:104], v[107:108], -v[89:90]
	v_add_f64 v[105:106], v[16:17], -v[73:74]
	v_fma_f64 v[24:25], v[85:86], -0.5, v[24:25]
	v_fma_f64 v[26:27], v[51:52], s[8:9], v[26:27]
	v_fma_f64 v[51:52], v[51:52], s[8:9], v[53:54]
	;; [unrolled: 1-line block ×3, first 2 shown]
	v_add_f64 v[67:68], v[93:94], v[73:74]
	v_fma_f64 v[85:86], v[87:88], s[16:17], v[95:96]
	v_fma_f64 v[30:31], v[42:43], s[4:5], v[30:31]
	v_add_f64 v[93:94], v[103:104], v[105:106]
	v_fma_f64 v[95:96], v[87:88], s[4:5], v[24:25]
	v_add_f64 v[89:90], v[89:90], -v[107:108]
	v_add_f64 v[103:104], v[6:7], v[10:11]
	v_add_f64 v[73:74], v[73:74], -v[16:17]
	v_fma_f64 v[2:3], v[77:78], s[8:9], v[2:3]
	v_add_f64 v[77:78], v[91:92], v[36:37]
	v_fma_f64 v[24:25], v[87:88], s[14:15], v[24:25]
	v_add_f64 v[16:17], v[67:68], v[16:17]
	v_fma_f64 v[67:68], v[93:94], s[8:9], v[85:86]
	v_fma_f64 v[30:31], v[87:88], s[6:7], v[30:31]
	v_add_f64 v[85:86], v[103:104], v[91:92]
	v_fma_f64 v[87:88], v[42:43], s[16:17], v[95:96]
	v_add_f64 v[73:74], v[89:90], v[73:74]
	v_fma_f64 v[77:78], v[77:78], -0.5, v[6:7]
	v_add_f64 v[105:106], v[8:9], -v[28:29]
	v_fma_f64 v[24:25], v[42:43], s[6:7], v[24:25]
	v_add_f64 v[103:104], v[10:11], -v[91:92]
	v_fma_f64 v[30:31], v[93:94], s[8:9], v[30:31]
	v_add_f64 v[42:43], v[85:86], v[36:37]
	v_add_f64 v[93:94], v[101:102], v[63:64]
	v_fma_f64 v[85:86], v[73:74], s[8:9], v[87:88]
	v_add_f64 v[87:88], v[10:11], v[18:19]
	v_fma_f64 v[89:90], v[105:106], s[4:5], v[77:78]
	v_fma_f64 v[24:25], v[73:74], s[8:9], v[24:25]
	;; [unrolled: 1-line block ×3, first 2 shown]
	v_add_f64 v[77:78], v[8:9], v[28:29]
	v_add_f64 v[107:108], v[18:19], -v[36:37]
	v_add_f64 v[95:96], v[101:102], -v[63:64]
	v_add_f64 v[42:43], v[42:43], v[18:19]
	v_fma_f64 v[6:7], v[87:88], -0.5, v[6:7]
	v_fma_f64 v[87:88], v[93:94], -0.5, v[4:5]
	v_add_f64 v[93:94], v[10:11], -v[18:19]
	v_add_f64 v[10:11], v[91:92], -v[10:11]
	;; [unrolled: 1-line block ×4, first 2 shown]
	v_fma_f64 v[77:78], v[77:78], -0.5, v[4:5]
	v_add_f64 v[103:104], v[103:104], v[107:108]
	v_add_f64 v[109:110], v[8:9], -v[101:102]
	v_add_f64 v[117:118], v[28:29], -v[63:64]
	v_fma_f64 v[107:108], v[93:94], s[14:15], v[87:88]
	v_fma_f64 v[91:92], v[95:96], s[14:15], v[6:7]
	v_add_f64 v[4:5], v[4:5], v[8:9]
	v_add_f64 v[10:11], v[10:11], v[18:19]
	v_fma_f64 v[18:19], v[36:37], s[4:5], v[77:78]
	v_add_f64 v[8:9], v[101:102], -v[8:9]
	v_add_f64 v[125:126], v[63:64], -v[28:29]
	v_fma_f64 v[6:7], v[95:96], s[4:5], v[6:7]
	v_fma_f64 v[89:90], v[95:96], s[6:7], v[89:90]
	;; [unrolled: 1-line block ×4, first 2 shown]
	v_add_f64 v[107:108], v[109:110], v[117:118]
	v_add_f64 v[4:5], v[4:5], v[101:102]
	v_fma_f64 v[87:88], v[93:94], s[4:5], v[87:88]
	v_fma_f64 v[77:78], v[36:37], s[14:15], v[77:78]
	v_fma_f64 v[18:19], v[93:94], s[16:17], v[18:19]
	v_add_f64 v[8:9], v[8:9], v[125:126]
	v_fma_f64 v[6:7], v[105:106], s[16:17], v[6:7]
	v_fma_f64 v[91:92], v[105:106], s[6:7], v[91:92]
	v_fma_f64 v[95:96], v[107:108], s[8:9], v[95:96]
	;; [unrolled: 4-line block ×3, first 2 shown]
	v_fma_f64 v[18:19], v[8:9], s[8:9], v[18:19]
	v_fma_f64 v[6:7], v[10:11], s[8:9], v[6:7]
	;; [unrolled: 1-line block ×3, first 2 shown]
	v_mul_f64 v[77:78], v[95:96], s[6:7]
	v_fma_f64 v[10:11], v[10:11], s[8:9], v[91:92]
	v_add_f64 v[4:5], v[4:5], v[28:29]
	v_fma_f64 v[28:29], v[107:108], s[8:9], v[36:37]
	v_fma_f64 v[8:9], v[8:9], s[8:9], v[63:64]
	v_mul_f64 v[63:64], v[18:19], s[4:5]
	v_mul_f64 v[87:88], v[6:7], s[8:9]
	;; [unrolled: 1-line block ×3, first 2 shown]
	v_fma_f64 v[77:78], v[89:90], s[18:19], v[77:78]
	v_mul_f64 v[89:90], v[89:90], s[16:17]
	v_mul_f64 v[93:94], v[10:11], s[14:15]
	;; [unrolled: 1-line block ×4, first 2 shown]
	v_fma_f64 v[10:11], v[10:11], s[8:9], v[63:64]
	v_fma_f64 v[8:9], v[8:9], s[4:5], -v[87:88]
	v_fma_f64 v[28:29], v[28:29], s[6:7], -v[91:92]
	v_add_f64 v[36:37], v[22:23], v[42:43]
	v_add_f64 v[63:64], v[26:27], v[77:78]
	v_fma_f64 v[87:88], v[95:96], s[18:19], v[89:90]
	v_fma_f64 v[18:19], v[18:19], s[8:9], v[93:94]
	v_fma_f64 v[6:7], v[6:7], s[14:15], -v[101:102]
	v_add_f64 v[89:90], v[53:54], v[10:11]
	v_add_f64 v[91:92], v[2:3], v[8:9]
	;; [unrolled: 1-line block ×4, first 2 shown]
	v_add_f64 v[22:23], v[22:23], -v[42:43]
	v_add_f64 v[26:27], v[26:27], -v[77:78]
	;; [unrolled: 1-line block ×6, first 2 shown]
	v_mov_b32_e32 v4, 0x1f40
	v_cndmask_b32_e64 v4, 0, v4, s[0:1]
	v_lshlrev_b32_e32 v5, 3, v14
	v_add3_u32 v38, 0, v4, v5
	v_fma_f64 v[73:74], v[73:74], s[16:17], -v[103:104]
	ds_write2_b64 v38, v[59:60], v[71:72] offset1:100
	v_add_u32_e32 v60, 0x1000, v38
	ds_write2_b64 v60, v[40:41], v[61:62] offset0:88 offset1:188
	v_add_u32_e32 v61, 0x1800, v38
	ds_write2_b64 v61, v[0:1], v[34:35] offset0:32 offset1:132
	v_mul_u32_u24_e32 v0, 0x1f40, v15
	v_lshlrev_b32_e32 v1, 3, v13
	v_add_u32_e32 v54, 0x400, v38
	v_add_u32_e32 v59, 0x800, v38
	v_add3_u32 v62, 0, v0, v1
	ds_write2_b64 v54, v[111:112], v[113:114] offset0:72 offset1:172
	ds_write2_b64 v59, v[97:98], v[32:33] offset0:144 offset1:244
	ds_write2_b64 v62, v[36:37], v[63:64] offset1:100
	v_add_u32_e32 v63, 0x400, v62
	v_add_u32_e32 v64, 0x800, v62
	;; [unrolled: 1-line block ×4, first 2 shown]
	v_add_f64 v[103:104], v[85:86], v[18:19]
	v_add_f64 v[105:106], v[24:25], v[6:7]
	v_add_f64 v[77:78], v[85:86], -v[18:19]
	v_add_f64 v[85:86], v[24:25], -v[6:7]
	ds_write2_b64 v63, v[89:90], v[91:92] offset0:72 offset1:172
	ds_write2_b64 v64, v[93:94], v[22:23] offset0:144 offset1:244
	;; [unrolled: 1-line block ×4, first 2 shown]
	s_waitcnt lgkmcnt(0)
	s_barrier
	ds_read2_b64 v[0:3], v44 offset1:200
	ds_read2_b64 v[12:15], v46 offset0:32 offset1:232
	ds_read2_b64 v[4:7], v45 offset0:16 offset1:216
	;; [unrolled: 1-line block ×4, first 2 shown]
	ds_read2_b64 v[16:19], v20 offset1:200
	ds_read2_b64 v[26:29], v48 offset0:32 offset1:232
	v_add_f64 v[107:108], v[30:31], v[73:74]
	v_add_f64 v[73:74], v[30:31], -v[73:74]
	v_lshl_add_u32 v51, v84, 3, 0
	ds_read_b64 v[40:41], v44 offset:3200
	ds_read_b64 v[42:43], v51 offset:4800
	ds_read2_b64 v[34:37], v47 offset1:200
	ds_read2_b64 v[30:33], v50 offset0:16 offset1:216
	v_add_f64 v[101:102], v[67:68], v[87:88]
	v_add_f64 v[67:68], v[67:68], -v[87:88]
	s_waitcnt lgkmcnt(0)
	s_barrier
	ds_write2_b64 v38, v[99:100], v[115:116] offset1:100
	ds_write2_b64 v54, v[119:120], v[121:122] offset0:72 offset1:172
	ds_write2_b64 v59, v[123:124], v[57:58] offset0:144 offset1:244
	;; [unrolled: 1-line block ×4, first 2 shown]
	ds_write2_b64 v62, v[95:96], v[101:102] offset1:100
	ds_write2_b64 v63, v[103:104], v[105:106] offset0:72 offset1:172
	ds_write2_b64 v64, v[107:108], v[52:53] offset0:144 offset1:244
	;; [unrolled: 1-line block ×4, first 2 shown]
	s_waitcnt lgkmcnt(0)
	s_barrier
	s_and_saveexec_b64 s[0:1], vcc
	s_cbranch_execz .LBB0_15
; %bb.14:
	v_add_u32_e32 v111, 0x320, v84
	v_mul_u32_u24_e32 v38, 3, v111
	v_lshlrev_b32_e32 v38, 4, v38
	v_mov_b32_e32 v117, s13
	v_add_co_u32_e32 v38, vcc, s12, v38
	v_addc_co_u32_e32 v65, vcc, 0, v117, vcc
	s_movk_i32 s5, 0x3de0
	v_add_co_u32_e32 v60, vcc, s5, v38
	v_addc_co_u32_e32 v61, vcc, 0, v65, vcc
	s_movk_i32 s4, 0x3000
	v_add_co_u32_e32 v64, vcc, s4, v38
	global_load_dwordx4 v[52:55], v[60:61], off offset:32
	global_load_dwordx4 v[56:59], v[60:61], off offset:16
	v_mov_b32_e32 v38, 0xfffffda8
	v_mad_u32_u24 v38, v111, 3, v38
	v_lshlrev_b64 v[60:61], 4, v[38:39]
	v_addc_co_u32_e32 v65, vcc, 0, v65, vcc
	v_add_co_u32_e64 v38, s[0:1], s12, v60
	v_addc_co_u32_e64 v68, s[0:1], v117, v61, s[0:1]
	v_add_co_u32_e64 v60, s[0:1], s4, v38
	v_addc_co_u32_e64 v61, s[0:1], 0, v68, s[0:1]
	global_load_dwordx4 v[60:63], v[60:61], off offset:3552
	v_add_co_u32_e32 v76, vcc, s5, v38
	global_load_dwordx4 v[64:67], v[64:65], off offset:3552
	v_addc_co_u32_e32 v77, vcc, 0, v68, vcc
	global_load_dwordx4 v[68:71], v[76:77], off offset:32
	global_load_dwordx4 v[72:75], v[76:77], off offset:16
	v_mov_b32_e32 v38, 0xfffffb50
	v_mad_u32_u24 v38, v111, 3, v38
	v_lshlrev_b64 v[76:77], 4, v[38:39]
	v_mul_lo_u32 v118, s3, v82
	v_add_co_u32_e32 v38, vcc, s12, v76
	v_addc_co_u32_e32 v85, vcc, v117, v77, vcc
	v_add_co_u32_e32 v93, vcc, s5, v38
	v_addc_co_u32_e32 v94, vcc, 0, v85, vcc
	v_add_co_u32_e32 v95, vcc, s4, v38
	global_load_dwordx4 v[76:79], v[93:94], off offset:16
	v_addc_co_u32_e32 v96, vcc, 0, v85, vcc
	global_load_dwordx4 v[85:88], v[95:96], off offset:3552
	global_load_dwordx4 v[89:92], v[93:94], off offset:32
	ds_read2_b64 v[93:96], v46 offset0:32 offset1:232
	ds_read2_b64 v[97:100], v49 offset0:48 offset1:248
	ds_read2_b64 v[101:104], v47 offset1:200
	ds_read2_b64 v[105:108], v50 offset0:16 offset1:216
	ds_read2_b64 v[46:49], v48 offset0:32 offset1:232
	v_mov_b32_e32 v38, 0xfffff8f8
	v_mad_u32_u24 v38, v111, 3, v38
	v_lshlrev_b64 v[111:112], 4, v[38:39]
	v_mul_lo_u32 v119, s2, v83
	v_add_co_u32_e32 v38, vcc, s12, v111
	v_addc_co_u32_e32 v50, vcc, v117, v112, vcc
	v_mad_u64_u32 v[82:83], s[0:1], s2, v82, 0
	s_mov_b32 s0, 0x10624dd3
	s_mov_b32 s1, 0xb000
	v_add3_u32 v83, v83, v119, v118
	s_waitcnt vmcnt(8) lgkmcnt(1)
	v_mul_f64 v[113:114], v[107:108], v[54:55]
	s_waitcnt vmcnt(7)
	v_mul_f64 v[109:110], v[8:9], v[58:59]
	v_mul_f64 v[58:59], v[97:98], v[58:59]
	;; [unrolled: 1-line block ×3, first 2 shown]
	v_fma_f64 v[97:98], v[97:98], v[56:57], v[109:110]
	v_fma_f64 v[8:9], v[8:9], v[56:57], -v[58:59]
	v_fma_f64 v[107:108], v[52:53], v[107:108], v[54:55]
	v_fma_f64 v[109:110], v[32:33], v[52:53], -v[113:114]
	s_waitcnt vmcnt(6)
	v_mul_f64 v[115:116], v[101:102], v[62:63]
	v_mul_f64 v[52:53], v[34:35], v[62:63]
	v_add_f64 v[97:98], v[93:94], -v[97:98]
	s_waitcnt vmcnt(5)
	v_mul_f64 v[56:57], v[103:104], v[66:67]
	v_mul_f64 v[54:55], v[36:37], v[66:67]
	s_waitcnt vmcnt(4)
	v_mul_f64 v[58:59], v[105:106], v[70:71]
	v_add_f64 v[8:9], v[12:13], -v[8:9]
	v_fma_f64 v[111:112], v[34:35], v[60:61], -v[115:116]
	ds_read2_b64 v[32:35], v21 offset0:48 offset1:248
	v_fma_f64 v[66:67], v[36:37], v[64:65], -v[56:57]
	s_waitcnt vmcnt(3)
	v_mul_f64 v[36:37], v[28:29], v[74:75]
	v_fma_f64 v[113:114], v[30:31], v[68:69], -v[58:59]
	v_mul_f64 v[30:31], v[30:31], v[70:71]
	s_waitcnt lgkmcnt(1)
	v_mul_f64 v[70:71], v[48:49], v[74:75]
	v_fma_f64 v[74:75], v[60:61], v[101:102], v[52:53]
	v_fma_f64 v[103:104], v[64:65], v[103:104], v[54:55]
	ds_read2_b64 v[60:63], v20 offset1:200
	v_add_f64 v[109:110], v[66:67], -v[109:110]
	v_fma_f64 v[115:116], v[48:49], v[72:73], v[36:37]
	v_add_co_u32_e32 v36, vcc, s4, v38
	v_addc_co_u32_e32 v37, vcc, 0, v50, vcc
	global_load_dwordx4 v[52:55], v[36:37], off offset:3552
	s_waitcnt vmcnt(2) lgkmcnt(1)
	v_mul_f64 v[48:49], v[34:35], v[87:88]
	v_fma_f64 v[68:69], v[68:69], v[105:106], v[30:31]
	v_mul_f64 v[30:31], v[46:47], v[78:79]
	v_mul_f64 v[101:102], v[26:27], v[78:79]
	;; [unrolled: 1-line block ×3, first 2 shown]
	v_add_co_u32_e32 v36, vcc, s5, v38
	v_addc_co_u32_e32 v37, vcc, 0, v50, vcc
	global_load_dwordx4 v[56:59], v[36:37], off offset:16
	v_fma_f64 v[105:106], v[24:25], v[85:86], -v[48:49]
	v_fma_f64 v[87:88], v[26:27], v[76:77], -v[30:31]
	global_load_dwordx4 v[24:27], v[36:37], off offset:32
	v_fma_f64 v[70:71], v[28:29], v[72:73], -v[70:71]
	v_mul_u32_u24_e32 v28, 3, v84
	v_lshlrev_b32_e32 v28, 4, v28
	v_add_co_u32_e32 v28, vcc, s12, v28
	v_addc_co_u32_e32 v29, vcc, 0, v117, vcc
	v_fma_f64 v[78:79], v[46:47], v[76:77], v[101:102]
	v_fma_f64 v[101:102], v[85:86], v[34:35], v[64:65]
	v_add_co_u32_e32 v64, vcc, s5, v28
	v_addc_co_u32_e32 v65, vcc, 0, v29, vcc
	v_add_co_u32_e32 v76, vcc, s4, v28
	v_addc_co_u32_e32 v77, vcc, 0, v29, vcc
	global_load_dwordx4 v[28:31], v[64:65], off offset:32
	global_load_dwordx4 v[34:37], v[64:65], off offset:16
	;; [unrolled: 1-line block ×3, first 2 shown]
	v_add_f64 v[20:21], v[97:98], v[109:110]
	s_waitcnt vmcnt(6) lgkmcnt(0)
	v_mul_f64 v[72:73], v[62:63], v[91:92]
	v_mul_f64 v[64:65], v[18:19], v[91:92]
	v_add_f64 v[76:77], v[103:104], -v[107:108]
	ds_read_b64 v[50:51], v51 offset:4800
	v_fma_f64 v[91:92], v[93:94], 2.0, -v[97:98]
	ds_read_b64 v[93:94], v44 offset:3200
	v_add_f64 v[107:108], v[111:112], -v[113:114]
	v_fma_f64 v[12:13], v[12:13], 2.0, -v[8:9]
	v_fma_f64 v[85:86], v[18:19], v[89:90], -v[72:73]
	v_fma_f64 v[89:90], v[89:90], v[62:63], v[64:65]
	v_fma_f64 v[64:65], v[97:98], 2.0, -v[20:21]
	v_add_f64 v[18:19], v[8:9], -v[76:77]
	v_fma_f64 v[72:73], v[103:104], 2.0, -v[76:77]
	s_waitcnt lgkmcnt(1)
	v_add_f64 v[97:98], v[50:51], -v[115:116]
	v_add_f64 v[76:77], v[74:75], -v[68:69]
	;; [unrolled: 1-line block ×3, first 2 shown]
	v_fma_f64 v[66:67], v[66:67], 2.0, -v[109:110]
	v_add_f64 v[113:114], v[40:41], -v[87:88]
	s_waitcnt lgkmcnt(0)
	v_add_f64 v[78:79], v[93:94], -v[78:79]
	v_fma_f64 v[62:63], v[8:9], 2.0, -v[18:19]
	v_add_f64 v[68:69], v[91:92], -v[72:73]
	v_fma_f64 v[50:51], v[50:51], 2.0, -v[97:98]
	v_fma_f64 v[8:9], v[74:75], 2.0, -v[76:77]
	v_fma_f64 v[109:110], v[42:43], 2.0, -v[103:104]
	v_add_f64 v[42:43], v[101:102], -v[89:90]
	v_add_f64 v[72:73], v[97:98], v[107:108]
	v_fma_f64 v[107:108], v[111:112], 2.0, -v[107:108]
	v_add_f64 v[66:67], v[12:13], -v[66:67]
	v_add_f64 v[70:71], v[103:104], -v[76:77]
	v_fma_f64 v[76:77], v[91:92], 2.0, -v[68:69]
	v_add_f64 v[111:112], v[105:106], -v[85:86]
	v_add_f64 v[91:92], v[50:51], -v[8:9]
	;; [unrolled: 3-line block ×3, first 2 shown]
	v_fma_f64 v[74:75], v[12:13], 2.0, -v[66:67]
	v_fma_f64 v[87:88], v[97:98], 2.0, -v[72:73]
	;; [unrolled: 1-line block ×5, first 2 shown]
	ds_read2_b64 v[117:120], v44 offset1:200
	v_mul_hi_u32 v38, v84, s0
	v_fma_f64 v[105:106], v[109:110], 2.0, -v[89:90]
	v_fma_f64 v[109:110], v[113:114], 2.0, -v[101:102]
	ds_read2_b64 v[113:116], v45 offset0:16 offset1:216
	v_fma_f64 v[85:86], v[103:104], 2.0, -v[70:71]
	v_add_f64 v[103:104], v[78:79], v[111:112]
	s_waitcnt vmcnt(5)
	v_mul_f64 v[42:43], v[32:33], v[54:55]
	v_add_f64 v[40:41], v[97:98], -v[12:13]
	v_fma_f64 v[107:108], v[50:51], 2.0, -v[91:92]
	v_fma_f64 v[111:112], v[78:79], 2.0, -v[103:104]
	v_fma_f64 v[121:122], v[22:23], v[52:53], -v[42:43]
	v_mul_f64 v[22:23], v[22:23], v[54:55]
	v_add_f64 v[42:43], v[93:94], -v[8:9]
	v_fma_f64 v[50:51], v[97:98], 2.0, -v[40:41]
	s_waitcnt vmcnt(3)
	v_mul_f64 v[12:13], v[60:61], v[26:27]
	v_mul_f64 v[26:27], v[16:17], v[26:27]
	v_fma_f64 v[8:9], v[52:53], v[32:33], v[22:23]
	v_mul_f64 v[22:23], v[6:7], v[58:59]
	s_waitcnt lgkmcnt(0)
	v_mul_f64 v[32:33], v[115:116], v[58:59]
	v_fma_f64 v[52:53], v[93:94], 2.0, -v[42:43]
	v_fma_f64 v[12:13], v[16:17], v[24:25], -v[12:13]
	v_fma_f64 v[16:17], v[115:116], v[56:57], v[22:23]
	v_fma_f64 v[6:7], v[6:7], v[56:57], -v[32:33]
	v_fma_f64 v[22:23], v[24:25], v[60:61], v[26:27]
	s_waitcnt vmcnt(2)
	v_mul_f64 v[44:45], v[10:11], v[30:31]
	s_waitcnt vmcnt(1)
	v_mul_f64 v[24:25], v[4:5], v[36:37]
	;; [unrolled: 2-line block ×3, first 2 shown]
	v_mul_f64 v[32:33], v[14:15], v[48:49]
	v_mul_f64 v[36:37], v[113:114], v[36:37]
	;; [unrolled: 1-line block ×3, first 2 shown]
	v_add_f64 v[16:17], v[119:120], -v[16:17]
	v_add_f64 v[22:23], v[8:9], -v[22:23]
	v_fma_f64 v[24:25], v[113:114], v[34:35], v[24:25]
	v_fma_f64 v[14:15], v[14:15], v[46:47], -v[26:27]
	v_fma_f64 v[26:27], v[46:47], v[95:96], v[32:33]
	v_fma_f64 v[32:33], v[28:29], v[99:100], v[44:45]
	v_fma_f64 v[4:5], v[4:5], v[34:35], -v[36:37]
	v_fma_f64 v[10:11], v[10:11], v[28:29], -v[30:31]
	v_add_f64 v[28:29], v[2:3], -v[6:7]
	v_add_f64 v[6:7], v[121:122], -v[12:13]
	v_add_f64 v[34:35], v[117:118], -v[24:25]
	v_fma_f64 v[8:9], v[8:9], 2.0, -v[22:23]
	v_fma_f64 v[30:31], v[119:120], 2.0, -v[16:17]
	v_add_f64 v[24:25], v[26:27], -v[32:33]
	v_add_f64 v[36:37], v[0:1], -v[4:5]
	;; [unrolled: 1-line block ×3, first 2 shown]
	v_fma_f64 v[32:33], v[2:3], 2.0, -v[28:29]
	v_fma_f64 v[12:13], v[121:122], 2.0, -v[6:7]
	v_add_f64 v[2:3], v[28:29], -v[22:23]
	v_fma_f64 v[44:45], v[117:118], 2.0, -v[34:35]
	v_add_f64 v[4:5], v[16:17], v[6:7]
	v_fma_f64 v[22:23], v[26:27], 2.0, -v[24:25]
	v_fma_f64 v[0:1], v[0:1], 2.0, -v[36:37]
	v_fma_f64 v[26:27], v[14:15], 2.0, -v[10:11]
	v_add_f64 v[8:9], v[30:31], -v[8:9]
	v_add_f64 v[6:7], v[32:33], -v[12:13]
	v_add_f64 v[12:13], v[34:35], v[10:11]
	v_add_f64 v[10:11], v[36:37], -v[24:25]
	v_fma_f64 v[14:15], v[28:29], 2.0, -v[2:3]
	v_add_f64 v[24:25], v[44:45], -v[22:23]
	v_fma_f64 v[16:17], v[16:17], 2.0, -v[4:5]
	;; [unrolled: 2-line block ×3, first 2 shown]
	v_fma_f64 v[26:27], v[32:33], 2.0, -v[6:7]
	v_fma_f64 v[32:33], v[34:35], 2.0, -v[12:13]
	v_fma_f64 v[30:31], v[36:37], 2.0, -v[10:11]
	v_fma_f64 v[36:37], v[44:45], 2.0, -v[24:25]
	v_mov_b32_e32 v44, s11
	v_fma_f64 v[34:35], v[0:1], 2.0, -v[22:23]
	v_lshrrev_b32_e32 v0, 6, v38
	v_mul_u32_u24_e32 v0, 0x3e8, v0
	v_sub_u32_e32 v38, v84, v0
	v_lshlrev_b64 v[0:1], 4, v[82:83]
	v_add_co_u32_e32 v45, vcc, s10, v0
	v_addc_co_u32_e32 v44, vcc, v44, v1, vcc
	v_lshlrev_b64 v[0:1], 4, v[80:81]
	v_add_co_u32_e32 v45, vcc, v45, v0
	v_addc_co_u32_e32 v44, vcc, v44, v1, vcc
	v_lshlrev_b32_e32 v0, 4, v38
	v_add_co_u32_e32 v0, vcc, v45, v0
	v_addc_co_u32_e32 v1, vcc, 0, v44, vcc
	global_store_dwordx4 v[0:1], v[34:37], off
	s_nop 0
	v_add_co_u32_e32 v34, vcc, s4, v0
	v_addc_co_u32_e32 v35, vcc, 0, v1, vcc
	global_store_dwordx4 v[34:35], v[30:33], off offset:3712
	s_nop 0
	v_add_co_u32_e32 v30, vcc, s20, v0
	v_addc_co_u32_e32 v31, vcc, 0, v1, vcc
	global_store_dwordx4 v[30:31], v[22:25], off offset:3328
	v_add_co_u32_e32 v0, vcc, s1, v0
	v_add_u32_e32 v22, 0xc8, v84
	v_mul_hi_u32 v23, v22, s0
	v_addc_co_u32_e32 v1, vcc, 0, v1, vcc
	global_store_dwordx4 v[0:1], v[10:13], off offset:2944
	v_lshrrev_b32_e32 v0, 6, v23
	v_mul_u32_u24_e32 v1, 0x3e8, v0
	v_sub_u32_e32 v1, v22, v1
	s_movk_i32 s1, 0xfa0
	v_mad_u32_u24 v38, v0, s1, v1
	v_lshlrev_b64 v[0:1], 4, v[38:39]
	v_add_co_u32_e32 v0, vcc, v45, v0
	v_addc_co_u32_e32 v1, vcc, v44, v1, vcc
	global_store_dwordx4 v[0:1], v[26:29], off
	v_add_u32_e32 v0, 0x3e8, v38
	v_mov_b32_e32 v1, v39
	v_lshlrev_b64 v[0:1], 4, v[0:1]
	v_add_co_u32_e32 v0, vcc, v45, v0
	v_addc_co_u32_e32 v1, vcc, v44, v1, vcc
	global_store_dwordx4 v[0:1], v[14:17], off
	v_add_u32_e32 v0, 0x7d0, v38
	v_mov_b32_e32 v1, v39
	v_lshlrev_b64 v[0:1], 4, v[0:1]
	v_add_u32_e32 v38, 0xbb8, v38
	v_add_co_u32_e32 v0, vcc, v45, v0
	v_addc_co_u32_e32 v1, vcc, v44, v1, vcc
	global_store_dwordx4 v[0:1], v[6:9], off
	v_lshlrev_b64 v[0:1], 4, v[38:39]
	v_add_u32_e32 v6, 0x190, v84
	v_mul_hi_u32 v7, v6, s0
	v_add_co_u32_e32 v0, vcc, v45, v0
	v_addc_co_u32_e32 v1, vcc, v44, v1, vcc
	global_store_dwordx4 v[0:1], v[2:5], off
	v_lshrrev_b32_e32 v0, 6, v7
	v_mul_u32_u24_e32 v1, 0x3e8, v0
	v_sub_u32_e32 v1, v6, v1
	v_mad_u32_u24 v38, v0, s1, v1
	v_lshlrev_b64 v[0:1], 4, v[38:39]
	v_add_u32_e32 v2, 0x258, v84
	v_add_co_u32_e32 v0, vcc, v45, v0
	v_addc_co_u32_e32 v1, vcc, v44, v1, vcc
	global_store_dwordx4 v[0:1], v[50:53], off
	v_add_u32_e32 v0, 0x3e8, v38
	v_mov_b32_e32 v1, v39
	v_lshlrev_b64 v[0:1], 4, v[0:1]
	v_mul_hi_u32 v3, v2, s0
	v_add_co_u32_e32 v0, vcc, v45, v0
	v_addc_co_u32_e32 v1, vcc, v44, v1, vcc
	global_store_dwordx4 v[0:1], v[109:112], off
	v_add_u32_e32 v0, 0x7d0, v38
	v_mov_b32_e32 v1, v39
	v_lshlrev_b64 v[0:1], 4, v[0:1]
	v_add_u32_e32 v38, 0xbb8, v38
	v_add_co_u32_e32 v0, vcc, v45, v0
	v_addc_co_u32_e32 v1, vcc, v44, v1, vcc
	global_store_dwordx4 v[0:1], v[40:43], off
	v_lshlrev_b64 v[0:1], 4, v[38:39]
	v_add_co_u32_e32 v0, vcc, v45, v0
	v_addc_co_u32_e32 v1, vcc, v44, v1, vcc
	global_store_dwordx4 v[0:1], v[101:104], off
	v_lshrrev_b32_e32 v0, 6, v3
	v_mul_u32_u24_e32 v1, 0x3e8, v0
	v_sub_u32_e32 v1, v2, v1
	v_mad_u32_u24 v38, v0, s1, v1
	v_lshlrev_b64 v[0:1], 4, v[38:39]
	v_add_u32_e32 v2, 0x320, v84
	v_add_co_u32_e32 v0, vcc, v45, v0
	v_addc_co_u32_e32 v1, vcc, v44, v1, vcc
	global_store_dwordx4 v[0:1], v[105:108], off
	v_add_u32_e32 v0, 0x3e8, v38
	v_mov_b32_e32 v1, v39
	v_lshlrev_b64 v[0:1], 4, v[0:1]
	v_mul_hi_u32 v3, v2, s0
	v_add_co_u32_e32 v0, vcc, v45, v0
	v_addc_co_u32_e32 v1, vcc, v44, v1, vcc
	global_store_dwordx4 v[0:1], v[85:88], off
	v_add_u32_e32 v0, 0x7d0, v38
	v_mov_b32_e32 v1, v39
	v_lshlrev_b64 v[0:1], 4, v[0:1]
	v_add_u32_e32 v38, 0xbb8, v38
	v_add_co_u32_e32 v0, vcc, v45, v0
	v_addc_co_u32_e32 v1, vcc, v44, v1, vcc
	global_store_dwordx4 v[0:1], v[89:92], off
	v_lshlrev_b64 v[0:1], 4, v[38:39]
	v_add_co_u32_e32 v0, vcc, v45, v0
	v_addc_co_u32_e32 v1, vcc, v44, v1, vcc
	global_store_dwordx4 v[0:1], v[70:73], off
	v_lshrrev_b32_e32 v0, 6, v3
	v_mul_u32_u24_e32 v1, 0x3e8, v0
	v_sub_u32_e32 v1, v2, v1
	v_mad_u32_u24 v38, v0, s1, v1
	v_lshlrev_b64 v[0:1], 4, v[38:39]
	v_add_co_u32_e32 v0, vcc, v45, v0
	v_addc_co_u32_e32 v1, vcc, v44, v1, vcc
	global_store_dwordx4 v[0:1], v[74:77], off
	v_add_u32_e32 v0, 0x3e8, v38
	v_mov_b32_e32 v1, v39
	v_lshlrev_b64 v[0:1], 4, v[0:1]
	v_add_co_u32_e32 v0, vcc, v45, v0
	v_addc_co_u32_e32 v1, vcc, v44, v1, vcc
	global_store_dwordx4 v[0:1], v[62:65], off
	v_add_u32_e32 v0, 0x7d0, v38
	v_mov_b32_e32 v1, v39
	v_lshlrev_b64 v[0:1], 4, v[0:1]
	v_add_u32_e32 v38, 0xbb8, v38
	v_add_co_u32_e32 v0, vcc, v45, v0
	v_addc_co_u32_e32 v1, vcc, v44, v1, vcc
	global_store_dwordx4 v[0:1], v[66:69], off
	v_lshlrev_b64 v[0:1], 4, v[38:39]
	v_add_co_u32_e32 v0, vcc, v45, v0
	v_addc_co_u32_e32 v1, vcc, v44, v1, vcc
	global_store_dwordx4 v[0:1], v[18:21], off
.LBB0_15:
	s_endpgm
	.section	.rodata,"a",@progbits
	.p2align	6, 0x0
	.amdhsa_kernel fft_rtc_fwd_len4000_factors_10_10_10_4_wgs_200_tpt_200_halfLds_dp_op_CI_CI_unitstride_sbrr_dirReg
		.amdhsa_group_segment_fixed_size 0
		.amdhsa_private_segment_fixed_size 0
		.amdhsa_kernarg_size 104
		.amdhsa_user_sgpr_count 6
		.amdhsa_user_sgpr_private_segment_buffer 1
		.amdhsa_user_sgpr_dispatch_ptr 0
		.amdhsa_user_sgpr_queue_ptr 0
		.amdhsa_user_sgpr_kernarg_segment_ptr 1
		.amdhsa_user_sgpr_dispatch_id 0
		.amdhsa_user_sgpr_flat_scratch_init 0
		.amdhsa_user_sgpr_private_segment_size 0
		.amdhsa_uses_dynamic_stack 0
		.amdhsa_system_sgpr_private_segment_wavefront_offset 0
		.amdhsa_system_sgpr_workgroup_id_x 1
		.amdhsa_system_sgpr_workgroup_id_y 0
		.amdhsa_system_sgpr_workgroup_id_z 0
		.amdhsa_system_sgpr_workgroup_info 0
		.amdhsa_system_vgpr_workitem_id 0
		.amdhsa_next_free_vgpr 130
		.amdhsa_next_free_sgpr 28
		.amdhsa_reserve_vcc 1
		.amdhsa_reserve_flat_scratch 0
		.amdhsa_float_round_mode_32 0
		.amdhsa_float_round_mode_16_64 0
		.amdhsa_float_denorm_mode_32 3
		.amdhsa_float_denorm_mode_16_64 3
		.amdhsa_dx10_clamp 1
		.amdhsa_ieee_mode 1
		.amdhsa_fp16_overflow 0
		.amdhsa_exception_fp_ieee_invalid_op 0
		.amdhsa_exception_fp_denorm_src 0
		.amdhsa_exception_fp_ieee_div_zero 0
		.amdhsa_exception_fp_ieee_overflow 0
		.amdhsa_exception_fp_ieee_underflow 0
		.amdhsa_exception_fp_ieee_inexact 0
		.amdhsa_exception_int_div_zero 0
	.end_amdhsa_kernel
	.text
.Lfunc_end0:
	.size	fft_rtc_fwd_len4000_factors_10_10_10_4_wgs_200_tpt_200_halfLds_dp_op_CI_CI_unitstride_sbrr_dirReg, .Lfunc_end0-fft_rtc_fwd_len4000_factors_10_10_10_4_wgs_200_tpt_200_halfLds_dp_op_CI_CI_unitstride_sbrr_dirReg
                                        ; -- End function
	.section	.AMDGPU.csdata,"",@progbits
; Kernel info:
; codeLenInByte = 14548
; NumSgprs: 32
; NumVgprs: 130
; ScratchSize: 0
; MemoryBound: 1
; FloatMode: 240
; IeeeMode: 1
; LDSByteSize: 0 bytes/workgroup (compile time only)
; SGPRBlocks: 3
; VGPRBlocks: 32
; NumSGPRsForWavesPerEU: 32
; NumVGPRsForWavesPerEU: 130
; Occupancy: 1
; WaveLimiterHint : 1
; COMPUTE_PGM_RSRC2:SCRATCH_EN: 0
; COMPUTE_PGM_RSRC2:USER_SGPR: 6
; COMPUTE_PGM_RSRC2:TRAP_HANDLER: 0
; COMPUTE_PGM_RSRC2:TGID_X_EN: 1
; COMPUTE_PGM_RSRC2:TGID_Y_EN: 0
; COMPUTE_PGM_RSRC2:TGID_Z_EN: 0
; COMPUTE_PGM_RSRC2:TIDIG_COMP_CNT: 0
	.type	__hip_cuid_13053c0cd6ab6403,@object ; @__hip_cuid_13053c0cd6ab6403
	.section	.bss,"aw",@nobits
	.globl	__hip_cuid_13053c0cd6ab6403
__hip_cuid_13053c0cd6ab6403:
	.byte	0                               ; 0x0
	.size	__hip_cuid_13053c0cd6ab6403, 1

	.ident	"AMD clang version 19.0.0git (https://github.com/RadeonOpenCompute/llvm-project roc-6.4.0 25133 c7fe45cf4b819c5991fe208aaa96edf142730f1d)"
	.section	".note.GNU-stack","",@progbits
	.addrsig
	.addrsig_sym __hip_cuid_13053c0cd6ab6403
	.amdgpu_metadata
---
amdhsa.kernels:
  - .args:
      - .actual_access:  read_only
        .address_space:  global
        .offset:         0
        .size:           8
        .value_kind:     global_buffer
      - .offset:         8
        .size:           8
        .value_kind:     by_value
      - .actual_access:  read_only
        .address_space:  global
        .offset:         16
        .size:           8
        .value_kind:     global_buffer
      - .actual_access:  read_only
        .address_space:  global
        .offset:         24
        .size:           8
        .value_kind:     global_buffer
      - .actual_access:  read_only
        .address_space:  global
        .offset:         32
        .size:           8
        .value_kind:     global_buffer
      - .offset:         40
        .size:           8
        .value_kind:     by_value
      - .actual_access:  read_only
        .address_space:  global
        .offset:         48
        .size:           8
        .value_kind:     global_buffer
      - .actual_access:  read_only
        .address_space:  global
        .offset:         56
        .size:           8
        .value_kind:     global_buffer
      - .offset:         64
        .size:           4
        .value_kind:     by_value
      - .actual_access:  read_only
        .address_space:  global
        .offset:         72
        .size:           8
        .value_kind:     global_buffer
      - .actual_access:  read_only
        .address_space:  global
        .offset:         80
        .size:           8
        .value_kind:     global_buffer
      - .actual_access:  read_only
        .address_space:  global
        .offset:         88
        .size:           8
        .value_kind:     global_buffer
      - .actual_access:  write_only
        .address_space:  global
        .offset:         96
        .size:           8
        .value_kind:     global_buffer
    .group_segment_fixed_size: 0
    .kernarg_segment_align: 8
    .kernarg_segment_size: 104
    .language:       OpenCL C
    .language_version:
      - 2
      - 0
    .max_flat_workgroup_size: 200
    .name:           fft_rtc_fwd_len4000_factors_10_10_10_4_wgs_200_tpt_200_halfLds_dp_op_CI_CI_unitstride_sbrr_dirReg
    .private_segment_fixed_size: 0
    .sgpr_count:     32
    .sgpr_spill_count: 0
    .symbol:         fft_rtc_fwd_len4000_factors_10_10_10_4_wgs_200_tpt_200_halfLds_dp_op_CI_CI_unitstride_sbrr_dirReg.kd
    .uniform_work_group_size: 1
    .uses_dynamic_stack: false
    .vgpr_count:     130
    .vgpr_spill_count: 0
    .wavefront_size: 64
amdhsa.target:   amdgcn-amd-amdhsa--gfx906
amdhsa.version:
  - 1
  - 2
...

	.end_amdgpu_metadata
